;; amdgpu-corpus repo=ROCm/rocFFT kind=compiled arch=gfx1030 opt=O3
	.text
	.amdgcn_target "amdgcn-amd-amdhsa--gfx1030"
	.amdhsa_code_object_version 6
	.protected	bluestein_single_back_len612_dim1_sp_op_CI_CI ; -- Begin function bluestein_single_back_len612_dim1_sp_op_CI_CI
	.globl	bluestein_single_back_len612_dim1_sp_op_CI_CI
	.p2align	8
	.type	bluestein_single_back_len612_dim1_sp_op_CI_CI,@function
bluestein_single_back_len612_dim1_sp_op_CI_CI: ; @bluestein_single_back_len612_dim1_sp_op_CI_CI
; %bb.0:
	s_load_dwordx4 s[0:3], s[4:5], 0x28
	v_mul_u32_u24_e32 v1, 0x506, v0
	v_mov_b32_e32 v57, 0
	v_lshrrev_b32_e32 v1, 16, v1
	v_add_nc_u32_e32 v56, s6, v1
	s_waitcnt lgkmcnt(0)
	v_cmp_gt_u64_e32 vcc_lo, s[0:1], v[56:57]
	s_and_saveexec_b32 s0, vcc_lo
	s_cbranch_execz .LBB0_15
; %bb.1:
	v_mul_lo_u16 v1, v1, 51
	s_clause 0x1
	s_load_dwordx2 s[12:13], s[4:5], 0x0
	s_load_dwordx2 s[14:15], s[4:5], 0x38
	v_sub_nc_u16 v0, v0, v1
	v_and_b32_e32 v91, 0xffff, v0
	v_cmp_gt_u16_e32 vcc_lo, 36, v0
	v_lshlrev_b32_e32 v90, 3, v91
	v_or_b32_e32 v89, 0x240, v91
	s_and_saveexec_b32 s1, vcc_lo
	s_cbranch_execz .LBB0_3
; %bb.2:
	s_load_dwordx2 s[6:7], s[4:5], 0x18
	s_waitcnt lgkmcnt(0)
	v_add_co_u32 v24, s0, s12, v90
	v_add_co_ci_u32_e64 v25, null, s13, 0, s0
	v_lshlrev_b32_e32 v16, 3, v89
	v_add_co_u32 v22, s0, 0x800, v24
	v_add_co_ci_u32_e64 v23, s0, 0, v25, s0
	v_add_co_u32 v24, s0, 0x1000, v24
	v_add_co_ci_u32_e64 v25, s0, 0, v25, s0
	global_load_dwordx2 v[0:1], v90, s[12:13] offset:576
	v_add_nc_u32_e32 v71, 0x800, v90
	v_add_nc_u32_e32 v72, 0xc00, v90
	s_load_dwordx4 s[8:11], s[6:7], 0x0
	s_clause 0x7
	global_load_dwordx2 v[2:3], v90, s[12:13] offset:864
	global_load_dwordx2 v[4:5], v90, s[12:13] offset:1152
	;; [unrolled: 1-line block ×6, first 2 shown]
	global_load_dwordx2 v[14:15], v90, s[12:13]
	global_load_dwordx2 v[16:17], v16, s[12:13]
	s_waitcnt lgkmcnt(0)
	v_mad_u64_u32 v[18:19], null, s10, v56, 0
	v_mad_u64_u32 v[20:21], null, s8, v91, 0
	;; [unrolled: 1-line block ×3, first 2 shown]
	s_mul_i32 s0, s9, 0x120
	s_mul_hi_u32 s6, s8, 0x120
	s_mul_i32 s7, s8, 0x120
	s_add_i32 s6, s6, s0
	v_mad_u64_u32 v[28:29], null, s11, v56, v[19:20]
	v_mad_u64_u32 v[29:30], null, s9, v91, v[21:22]
	s_clause 0x5
	global_load_dwordx2 v[30:31], v[22:23], off offset:256
	global_load_dwordx2 v[32:33], v[22:23], off offset:544
	;; [unrolled: 1-line block ×6, first 2 shown]
	v_mov_b32_e32 v19, v28
	v_mad_u64_u32 v[27:28], null, s9, v89, v[27:28]
	v_mov_b32_e32 v21, v29
	v_lshlrev_b64 v[18:19], 3, v[18:19]
	v_lshlrev_b64 v[20:21], 3, v[20:21]
	v_add_co_u32 v28, s0, s2, v18
	v_add_co_ci_u32_e64 v29, s0, s3, v19, s0
	v_add_co_u32 v18, s0, v28, v20
	v_add_co_ci_u32_e64 v19, s0, v29, v21, s0
	v_lshlrev_b64 v[20:21], 3, v[26:27]
	v_add_co_u32 v26, s0, v18, s7
	v_add_co_ci_u32_e64 v27, s0, s6, v19, s0
	global_load_dwordx2 v[18:19], v[18:19], off
	v_add_co_u32 v20, s0, v28, v20
	v_add_co_ci_u32_e64 v21, s0, v29, v21, s0
	v_add_co_u32 v28, s0, v26, s7
	v_add_co_ci_u32_e64 v29, s0, s6, v27, s0
	global_load_dwordx2 v[20:21], v[20:21], off
	v_add_co_u32 v42, s0, v28, s7
	v_add_co_ci_u32_e64 v43, s0, s6, v29, s0
	v_add_co_u32 v44, s0, v42, s7
	v_add_co_ci_u32_e64 v45, s0, s6, v43, s0
	s_clause 0x2
	global_load_dwordx2 v[26:27], v[26:27], off
	global_load_dwordx2 v[28:29], v[28:29], off
	;; [unrolled: 1-line block ×3, first 2 shown]
	v_add_co_u32 v46, s0, v44, s7
	v_add_co_ci_u32_e64 v47, s0, s6, v45, s0
	global_load_dwordx2 v[44:45], v[44:45], off
	v_add_co_u32 v48, s0, v46, s7
	v_add_co_ci_u32_e64 v49, s0, s6, v47, s0
	global_load_dwordx2 v[46:47], v[46:47], off
	;; [unrolled: 3-line block ×10, first 2 shown]
	v_add_co_u32 v67, s0, v65, s7
	v_add_co_ci_u32_e64 v68, s0, s6, v66, s0
	global_load_dwordx2 v[22:23], v[22:23], off offset:1984
	global_load_dwordx2 v[65:66], v[65:66], off
	global_load_dwordx2 v[24:25], v[24:25], off offset:224
	global_load_dwordx2 v[67:68], v[67:68], off
	s_waitcnt vmcnt(18)
	v_mul_f32_e32 v69, v19, v15
	v_mul_f32_e32 v70, v18, v15
	v_fmac_f32_e32 v69, v18, v14
	v_fma_f32 v70, v19, v14, -v70
	s_waitcnt vmcnt(17)
	v_mul_f32_e32 v15, v21, v17
	v_mul_f32_e32 v73, v20, v17
	v_fmac_f32_e32 v15, v20, v16
	v_fma_f32 v16, v21, v16, -v73
	s_waitcnt vmcnt(16)
	v_mul_f32_e32 v17, v27, v13
	v_mul_f32_e32 v14, v26, v13
	s_waitcnt vmcnt(15)
	v_mul_f32_e32 v13, v29, v1
	v_mul_f32_e32 v19, v28, v1
	s_waitcnt vmcnt(14)
	v_mul_f32_e32 v1, v43, v3
	v_fmac_f32_e32 v17, v26, v12
	v_fma_f32 v18, v27, v12, -v14
	v_fmac_f32_e32 v13, v28, v0
	v_fma_f32 v14, v29, v0, -v19
	v_mul_f32_e32 v0, v42, v3
	s_waitcnt vmcnt(13)
	v_mul_f32_e32 v3, v45, v5
	v_mul_f32_e32 v5, v44, v5
	s_waitcnt vmcnt(12)
	v_mul_f32_e32 v12, v46, v7
	v_mul_f32_e32 v19, v47, v7
	v_fmac_f32_e32 v1, v42, v2
	v_fmac_f32_e32 v3, v44, v4
	v_fma_f32 v4, v45, v4, -v5
	v_fma_f32 v20, v47, v6, -v12
	v_fmac_f32_e32 v19, v46, v6
	v_fma_f32 v2, v43, v2, -v0
	ds_write2_b64 v90, v[69:70], v[17:18] offset1:36
	ds_write2_b64 v90, v[13:14], v[1:2] offset0:72 offset1:108
	s_waitcnt vmcnt(11)
	v_mul_f32_e32 v0, v49, v9
	v_mul_f32_e32 v1, v48, v9
	ds_write2_b64 v90, v[3:4], v[19:20] offset0:144 offset1:180
	s_waitcnt vmcnt(10)
	v_mul_f32_e32 v2, v51, v11
	v_mul_f32_e32 v3, v50, v11
	s_waitcnt vmcnt(9)
	v_mul_f32_e32 v4, v53, v31
	v_mul_f32_e32 v5, v52, v31
	v_fmac_f32_e32 v0, v48, v8
	s_waitcnt vmcnt(8)
	v_mul_f32_e32 v6, v55, v33
	v_mul_f32_e32 v7, v54, v33
	v_fma_f32 v1, v49, v8, -v1
	v_fmac_f32_e32 v2, v50, v10
	v_fma_f32 v3, v51, v10, -v3
	s_waitcnt vmcnt(7)
	v_mul_f32_e32 v8, v58, v35
	v_mul_f32_e32 v9, v57, v35
	v_fmac_f32_e32 v4, v52, v30
	v_fma_f32 v5, v53, v30, -v5
	v_fmac_f32_e32 v6, v54, v32
	s_waitcnt vmcnt(6)
	v_mul_f32_e32 v10, v60, v37
	v_mul_f32_e32 v11, v59, v37
	v_fma_f32 v7, v55, v32, -v7
	v_fmac_f32_e32 v8, v57, v34
	v_fma_f32 v9, v58, v34, -v9
	s_waitcnt vmcnt(5)
	v_mul_f32_e32 v12, v62, v39
	v_mul_f32_e32 v13, v61, v39
	v_fmac_f32_e32 v10, v59, v36
	v_fma_f32 v11, v60, v36, -v11
	s_waitcnt vmcnt(4)
	v_mul_f32_e32 v17, v64, v41
	v_mul_f32_e32 v14, v63, v41
	v_fmac_f32_e32 v12, v61, v38
	s_waitcnt vmcnt(2)
	v_mul_f32_e32 v19, v66, v23
	v_mul_f32_e32 v20, v65, v23
	s_waitcnt vmcnt(0)
	v_mul_f32_e32 v21, v68, v25
	v_mul_f32_e32 v23, v67, v25
	v_fma_f32 v13, v62, v38, -v13
	v_fmac_f32_e32 v17, v63, v40
	v_fma_f32 v18, v64, v40, -v14
	v_fmac_f32_e32 v19, v65, v22
	;; [unrolled: 2-line block ×3, first 2 shown]
	v_fma_f32 v22, v68, v24, -v23
	ds_write2_b64 v90, v[0:1], v[2:3] offset0:216 offset1:252
	ds_write2_b64 v71, v[4:5], v[6:7] offset0:32 offset1:68
	;; [unrolled: 1-line block ×5, first 2 shown]
	ds_write_b64 v90, v[15:16] offset:4608
.LBB0_3:
	s_or_b32 exec_lo, exec_lo, s1
	s_clause 0x1
	s_load_dwordx2 s[2:3], s[4:5], 0x20
	s_load_dwordx2 s[0:1], s[4:5], 0x8
	v_mov_b32_e32 v8, 0
	v_mov_b32_e32 v9, 0
	s_waitcnt lgkmcnt(0)
	s_barrier
	buffer_gl0_inv
                                        ; implicit-def: $vgpr26
                                        ; implicit-def: $vgpr22
                                        ; implicit-def: $vgpr16
                                        ; implicit-def: $vgpr12
                                        ; implicit-def: $vgpr40
                                        ; implicit-def: $vgpr34
                                        ; implicit-def: $vgpr30
                                        ; implicit-def: $vgpr38
	s_and_saveexec_b32 s4, vcc_lo
	s_cbranch_execz .LBB0_5
; %bb.4:
	v_add_nc_u32_e32 v0, 0x800, v90
	v_add_nc_u32_e32 v1, 0xc00, v90
	ds_read2_b64 v[8:11], v90 offset1:36
	ds_read2_b64 v[36:39], v90 offset0:72 offset1:108
	ds_read2_b64 v[28:31], v90 offset0:144 offset1:180
	;; [unrolled: 1-line block ×7, first 2 shown]
	ds_read_b64 v[40:41], v90 offset:4608
.LBB0_5:
	s_or_b32 exec_lo, exec_lo, s4
	s_waitcnt lgkmcnt(0)
	v_sub_f32_e32 v46, v11, v41
	v_add_f32_e32 v50, v40, v10
	v_sub_f32_e32 v47, v10, v40
	v_sub_f32_e32 v48, v37, v15
	v_add_f32_e32 v51, v41, v11
	v_mul_f32_e32 v62, 0xbeb8f4ab, v46
	v_add_f32_e32 v52, v14, v36
	v_mul_f32_e32 v70, 0xbeb8f4ab, v47
	v_mul_f32_e32 v61, 0xbf2c7751, v48
	v_sub_f32_e32 v49, v36, v14
	v_fmamk_f32 v0, v50, 0x3f6eb680, v62
	v_add_f32_e32 v53, v15, v37
	v_fma_f32 v1, 0x3f6eb680, v51, -v70
	v_fmamk_f32 v2, v52, 0x3f3d2fb0, v61
	v_sub_f32_e32 v116, v39, v13
	v_add_f32_e32 v0, v0, v8
	v_mul_f32_e32 v76, 0xbf2c7751, v49
	v_sub_f32_e32 v117, v38, v12
	v_add_f32_e32 v54, v12, v38
	v_add_f32_e32 v1, v1, v9
	;; [unrolled: 1-line block ×3, first 2 shown]
	v_mul_f32_e32 v66, 0xbf65296c, v116
	v_fma_f32 v2, 0x3f3d2fb0, v53, -v76
	v_sub_f32_e32 v120, v29, v19
	v_add_f32_e32 v59, v13, v39
	v_mul_f32_e32 v72, 0xbf65296c, v117
	v_sub_f32_e32 v123, v28, v18
	v_fmamk_f32 v3, v54, 0x3ee437d1, v66
	v_add_f32_e32 v55, v18, v28
	v_mul_f32_e32 v67, 0xbf7ee86f, v120
	v_add_f32_e32 v1, v2, v1
	v_fma_f32 v2, 0x3ee437d1, v59, -v72
	v_add_f32_e32 v60, v19, v29
	v_mul_f32_e32 v75, 0xbf7ee86f, v123
	v_sub_f32_e32 v124, v31, v17
	v_sub_f32_e32 v125, v30, v16
	v_add_f32_e32 v0, v3, v0
	v_fmamk_f32 v3, v55, 0x3dbcf732, v67
	v_add_f32_e32 v1, v2, v1
	v_fma_f32 v2, 0x3dbcf732, v60, -v75
	v_add_f32_e32 v63, v16, v30
	v_mul_f32_e32 v73, 0xbf763a35, v124
	v_add_f32_e32 v64, v17, v31
	v_mul_f32_e32 v79, 0xbf763a35, v125
	v_sub_f32_e32 v127, v33, v23
	v_add_f32_e32 v0, v3, v0
	v_fmamk_f32 v3, v63, 0xbe8c1d8e, v73
	v_add_f32_e32 v1, v2, v1
	v_fma_f32 v2, 0xbe8c1d8e, v64, -v79
	v_add_f32_e32 v65, v22, v32
	v_mul_f32_e32 v77, 0xbf4c4adb, v127
	v_sub_f32_e32 v129, v32, v22
	v_sub_f32_e32 v128, v35, v21
	v_add_f32_e32 v0, v3, v0
	v_add_f32_e32 v1, v2, v1
	v_fmamk_f32 v2, v65, 0xbf1a4643, v77
	v_add_f32_e32 v69, v23, v33
	v_mul_f32_e32 v82, 0xbf4c4adb, v129
	v_add_f32_e32 v68, v20, v34
	v_mul_f32_e32 v80, 0xbf06c442, v128
	v_sub_f32_e32 v134, v34, v20
	v_sub_f32_e32 v138, v25, v27
	v_add_f32_e32 v0, v2, v0
	v_fma_f32 v2, 0xbf1a4643, v69, -v82
	v_fmamk_f32 v3, v68, 0xbf59a7d5, v80
	v_add_f32_e32 v74, v21, v35
	v_mul_f32_e32 v83, 0xbf06c442, v134
	v_add_f32_e32 v71, v26, v24
	v_mul_f32_e32 v81, 0xbe3c28d5, v138
	v_mul_f32_e32 v88, 0xbf2c7751, v46
	v_add_f32_e32 v1, v2, v1
	v_add_f32_e32 v0, v3, v0
	v_fma_f32 v2, 0xbf59a7d5, v74, -v83
	v_fmamk_f32 v3, v71, 0xbf7ba420, v81
	v_fmamk_f32 v4, v50, 0x3f3d2fb0, v88
	v_mul_f32_e32 v92, 0xbf7ee86f, v48
	v_mul_f32_e32 v101, 0xbf2c7751, v47
	v_add_f32_e32 v1, v2, v1
	v_add_f32_e32 v57, v3, v0
	;; [unrolled: 1-line block ×3, first 2 shown]
	v_fmamk_f32 v2, v52, 0x3dbcf732, v92
	v_fma_f32 v3, 0x3f3d2fb0, v51, -v101
	v_mul_f32_e32 v100, 0xbf7ee86f, v49
	v_mul_f32_e32 v95, 0xbf4c4adb, v116
	;; [unrolled: 1-line block ×3, first 2 shown]
	v_add_f32_e32 v0, v2, v0
	v_add_f32_e32 v2, v3, v9
	v_fma_f32 v3, 0x3dbcf732, v53, -v100
	v_sub_f32_e32 v148, v24, v26
	v_fmamk_f32 v4, v54, 0xbf1a4643, v95
	v_mul_f32_e32 v93, 0xbe3c28d5, v120
	v_mul_f32_e32 v97, 0xbe3c28d5, v123
	v_add_f32_e32 v2, v3, v2
	v_fma_f32 v3, 0xbf1a4643, v59, -v96
	v_add_f32_e32 v78, v27, v25
	v_add_f32_e32 v0, v4, v0
	v_fmamk_f32 v4, v55, 0xbf7ba420, v93
	v_mul_f32_e32 v84, 0xbe3c28d5, v148
	v_mul_f32_e32 v94, 0x3f06c442, v124
	v_add_f32_e32 v2, v3, v2
	v_fma_f32 v3, 0xbf7ba420, v60, -v97
	v_mul_f32_e32 v99, 0x3f06c442, v125
	v_add_f32_e32 v0, v4, v0
	v_fmamk_f32 v4, v63, 0xbf59a7d5, v94
	v_mul_f32_e32 v85, 0x3f763a35, v127
	v_fma_f32 v5, 0xbf7ba420, v78, -v84
	v_add_f32_e32 v2, v3, v2
	v_fma_f32 v3, 0xbf59a7d5, v64, -v99
	v_mul_f32_e32 v98, 0x3f763a35, v129
	v_mul_f32_e32 v110, 0xbf65296c, v46
	v_add_f32_e32 v0, v4, v0
	v_fmamk_f32 v4, v65, 0xbe8c1d8e, v85
	v_add_f32_e32 v58, v5, v1
	v_add_f32_e32 v1, v3, v2
	v_fma_f32 v2, 0xbe8c1d8e, v69, -v98
	v_mul_f32_e32 v86, 0x3f65296c, v128
	v_fmamk_f32 v3, v50, 0x3ee437d1, v110
	v_mul_f32_e32 v111, 0xbf4c4adb, v48
	v_add_f32_e32 v0, v4, v0
	v_add_f32_e32 v1, v2, v1
	v_fmamk_f32 v2, v68, 0x3ee437d1, v86
	v_add_f32_e32 v3, v3, v8
	v_fmamk_f32 v5, v52, 0xbf1a4643, v111
	v_mul_f32_e32 v109, 0x3e3c28d5, v116
	v_mul_f32_e32 v104, 0x3f763a35, v120
	v_add_f32_e32 v0, v2, v0
	v_mul_f32_e32 v121, 0xbf65296c, v47
	v_add_f32_e32 v2, v5, v3
	v_fmamk_f32 v3, v54, 0xbf7ba420, v109
	v_mul_f32_e32 v107, 0x3f2c7751, v124
	v_mul_f32_e32 v102, 0x3f65296c, v134
	v_fma_f32 v6, 0x3ee437d1, v51, -v121
	v_mul_f32_e32 v122, 0xbf4c4adb, v49
	v_add_f32_e32 v2, v3, v2
	v_fmamk_f32 v3, v55, 0xbe8c1d8e, v104
	v_mul_f32_e32 v108, 0xbeb8f4ab, v127
	v_fma_f32 v4, 0x3ee437d1, v74, -v102
	v_mul_f32_e32 v87, 0x3eb8f4ab, v138
	v_add_f32_e32 v6, v6, v9
	v_add_f32_e32 v2, v3, v2
	v_fmamk_f32 v3, v63, 0x3f3d2fb0, v107
	v_fma_f32 v7, 0xbf1a4643, v53, -v122
	v_mul_f32_e32 v119, 0x3e3c28d5, v117
	v_mul_f32_e32 v106, 0xbf7ee86f, v128
	v_add_f32_e32 v1, v4, v1
	v_add_f32_e32 v2, v3, v2
	v_fmamk_f32 v3, v65, 0x3f6eb680, v108
	v_fmamk_f32 v4, v71, 0x3f6eb680, v87
	v_add_f32_e32 v6, v7, v6
	v_fma_f32 v7, 0xbf7ba420, v59, -v119
	v_mul_f32_e32 v118, 0x3f763a35, v123
	v_add_f32_e32 v3, v3, v2
	v_fmamk_f32 v42, v68, 0x3dbcf732, v106
	v_mul_f32_e32 v105, 0xbf06c442, v138
	v_mul_f32_e32 v103, 0x3eb8f4ab, v148
	v_add_f32_e32 v6, v7, v6
	v_fma_f32 v7, 0xbe8c1d8e, v60, -v118
	v_mul_f32_e32 v114, 0x3f2c7751, v125
	v_add_f32_e32 v2, v4, v0
	v_add_f32_e32 v0, v42, v3
	v_fmamk_f32 v4, v71, 0xbf59a7d5, v105
	v_mul_f32_e32 v137, 0xbf7ee86f, v46
	v_fma_f32 v5, 0x3f6eb680, v78, -v103
	v_add_f32_e32 v6, v7, v6
	v_fma_f32 v7, 0x3f3d2fb0, v64, -v114
	v_add_f32_e32 v0, v4, v0
	v_fmamk_f32 v4, v50, 0x3dbcf732, v137
	v_mul_f32_e32 v140, 0xbe3c28d5, v48
	v_add_f32_e32 v3, v5, v1
	v_add_f32_e32 v1, v7, v6
	v_mul_f32_e32 v136, 0x3f763a35, v116
	v_add_f32_e32 v4, v4, v8
	v_fmamk_f32 v6, v52, 0xbf7ba420, v140
	v_mul_f32_e32 v135, 0x3eb8f4ab, v120
	v_mul_f32_e32 v132, 0xbf65296c, v124
	;; [unrolled: 1-line block ×4, first 2 shown]
	v_add_f32_e32 v4, v6, v4
	v_fmamk_f32 v6, v54, 0xbe8c1d8e, v136
	v_mul_f32_e32 v157, 0xbf7ee86f, v47
	v_mul_f32_e32 v167, 0xbf763a35, v46
	;; [unrolled: 1-line block ×4, first 2 shown]
	v_add_f32_e32 v4, v6, v4
	v_fmamk_f32 v6, v55, 0x3f6eb680, v135
	v_fma_f32 v5, 0x3dbcf732, v51, -v157
	v_mul_f32_e32 v173, 0x3f06c442, v48
	v_fma_f32 v43, 0xbe8c1d8e, v51, -v184
	v_mul_f32_e32 v183, 0x3f06c442, v49
	v_add_f32_e32 v4, v6, v4
	v_fmamk_f32 v6, v63, 0x3ee437d1, v132
	v_add_f32_e32 v5, v5, v9
	v_fma_f32 v7, 0xbf7ba420, v53, -v158
	v_mul_f32_e32 v156, 0x3f763a35, v117
	v_fmamk_f32 v44, v52, 0xbf59a7d5, v173
	v_add_f32_e32 v4, v6, v4
	v_fmamk_f32 v6, v65, 0xbf59a7d5, v131
	v_mul_f32_e32 v171, 0x3f2c7751, v116
	v_add_f32_e32 v43, v43, v9
	v_fma_f32 v45, 0xbf59a7d5, v53, -v183
	v_mul_f32_e32 v182, 0x3f2c7751, v117
	v_add_f32_e32 v4, v6, v4
	v_fmamk_f32 v6, v68, 0xbf1a4643, v130
	v_add_f32_e32 v5, v7, v5
	v_fma_f32 v7, 0xbe8c1d8e, v59, -v156
	v_mul_f32_e32 v154, 0x3eb8f4ab, v123
	v_mul_f32_e32 v169, 0xbf65296c, v120
	v_add_f32_e32 v4, v6, v4
	v_fmamk_f32 v6, v50, 0xbe8c1d8e, v167
	v_add_f32_e32 v43, v45, v43
	v_fma_f32 v45, 0x3f3d2fb0, v59, -v182
	v_mul_f32_e32 v180, 0xbf65296c, v123
	v_add_f32_e32 v5, v7, v5
	v_add_f32_e32 v6, v6, v8
	v_fma_f32 v7, 0x3f6eb680, v60, -v154
	v_mul_f32_e32 v147, 0xbf65296c, v125
	v_mul_f32_e32 v168, 0xbe3c28d5, v124
	v_add_f32_e32 v43, v45, v43
	v_add_f32_e32 v6, v44, v6
	v_fmamk_f32 v44, v54, 0x3f3d2fb0, v171
	v_fma_f32 v45, 0x3ee437d1, v60, -v180
	v_mul_f32_e32 v178, 0xbe3c28d5, v125
	v_mul_f32_e32 v112, 0xbeb8f4ab, v129
	v_add_f32_e32 v5, v7, v5
	v_add_f32_e32 v6, v44, v6
	v_fmamk_f32 v44, v55, 0x3ee437d1, v169
	;; [unrolled: 6-line block ×3, first 2 shown]
	v_fma_f32 v45, 0xbf7ba420, v64, -v178
	v_mul_f32_e32 v177, 0x3f7ee86f, v129
	v_fma_f32 v42, 0x3f6eb680, v69, -v112
	v_mul_f32_e32 v113, 0xbf7ee86f, v134
	v_add_f32_e32 v5, v7, v5
	v_fma_f32 v7, 0xbf59a7d5, v69, -v146
	v_mul_f32_e32 v145, 0x3f4c4adb, v134
	v_add_f32_e32 v6, v44, v6
	v_fmamk_f32 v44, v65, 0x3dbcf732, v166
	v_mul_f32_e32 v165, 0xbeb8f4ab, v128
	v_add_f32_e32 v43, v45, v43
	v_fma_f32 v45, 0x3dbcf732, v69, -v177
	v_mul_f32_e32 v176, 0xbeb8f4ab, v134
	v_add_f32_e32 v1, v42, v1
	v_fma_f32 v42, 0x3dbcf732, v74, -v113
	;; [unrolled: 3-line block ×3, first 2 shown]
	v_mul_f32_e32 v126, 0x3f2c7751, v138
	v_mul_f32_e32 v141, 0x3f2c7751, v148
	v_add_f32_e32 v6, v44, v6
	v_fmamk_f32 v44, v68, 0x3f6eb680, v165
	v_mul_f32_e32 v164, 0xbf4c4adb, v138
	v_add_f32_e32 v43, v45, v43
	v_fma_f32 v45, 0x3f6eb680, v74, -v176
	v_mul_f32_e32 v174, 0xbf4c4adb, v148
	v_add_f32_e32 v1, v42, v1
	v_fma_f32 v42, 0xbf59a7d5, v78, -v115
	v_add_f32_e32 v5, v7, v5
	v_fmamk_f32 v7, v71, 0x3f3d2fb0, v126
	v_fma_f32 v133, 0x3f3d2fb0, v78, -v141
	v_add_f32_e32 v44, v44, v6
	v_fmamk_f32 v139, v71, 0xbf1a4643, v164
	v_add_f32_e32 v43, v45, v43
	v_fma_f32 v45, 0xbf1a4643, v78, -v174
	v_add_f32_e32 v1, v42, v1
	v_add_f32_e32 v6, v7, v4
	;; [unrolled: 1-line block ×5, first 2 shown]
	s_barrier
	buffer_gl0_inv
	s_and_saveexec_b32 s4, vcc_lo
	s_cbranch_execz .LBB0_7
; %bb.6:
	v_mul_f32_e32 v44, 0xbf59a7d5, v51
	v_mul_f32_e32 v45, 0x3ee437d1, v53
	;; [unrolled: 1-line block ×5, first 2 shown]
	v_fmamk_f32 v42, v47, 0x3f06c442, v44
	v_fmamk_f32 v43, v49, 0xbf65296c, v45
	;; [unrolled: 1-line block ×3, first 2 shown]
	v_mul_f32_e32 v170, 0x3f6eb680, v64
	v_mul_f32_e32 v172, 0x3f65296c, v48
	v_add_f32_e32 v42, v42, v9
	v_fmamk_f32 v139, v50, 0xbf59a7d5, v155
	v_mul_f32_e32 v175, 0xbf7ba420, v69
	v_mul_f32_e32 v185, 0xbf7ee86f, v116
	v_fmamk_f32 v142, v125, 0x3eb8f4ab, v170
	v_add_f32_e32 v42, v43, v42
	v_fmamk_f32 v43, v123, 0xbf4c4adb, v163
	v_fmamk_f32 v143, v52, 0x3ee437d1, v172
	v_add_f32_e32 v144, v139, v8
	v_mul_f32_e32 v179, 0x3f3d2fb0, v74
	v_add_f32_e32 v42, v133, v42
	v_mul_f32_e32 v186, 0x3f4c4adb, v120
	v_mul_f32_e32 v133, 0xbe3c28d5, v47
	v_fmamk_f32 v149, v54, 0x3dbcf732, v185
	v_add_f32_e32 v143, v143, v144
	v_add_f32_e32 v42, v43, v42
	v_fmamk_f32 v43, v129, 0x3e3c28d5, v175
	v_mul_f32_e32 v187, 0xbeb8f4ab, v124
	v_mul_f32_e32 v139, 0x3eb8f4ab, v49
	v_fmamk_f32 v144, v134, 0xbf2c7751, v179
	v_add_f32_e32 v42, v142, v42
	v_fmamk_f32 v150, v55, 0xbf1a4643, v186
	v_fmamk_f32 v151, v51, 0xbf7ba420, v133
	v_add_f32_e32 v143, v149, v143
	v_mul_f32_e32 v142, 0xbf06c442, v117
	v_add_f32_e32 v42, v43, v42
	v_fmamk_f32 v43, v53, 0x3f6eb680, v139
	v_add_f32_e32 v149, v151, v9
	v_add_f32_e32 v150, v150, v143
	v_mul_f32_e32 v188, 0xbe3c28d5, v127
	v_add_f32_e32 v42, v144, v42
	v_fmamk_f32 v144, v63, 0x3f6eb680, v187
	v_add_f32_e32 v43, v43, v149
	v_fmamk_f32 v149, v59, 0xbf59a7d5, v142
	v_mul_f32_e32 v143, 0x3f2c7751, v123
	v_mul_f32_e32 v152, 0xbe3c28d5, v46
	v_add_f32_e32 v144, v144, v150
	v_fmamk_f32 v150, v65, 0xbf7ba420, v188
	v_mul_f32_e32 v189, 0x3f2c7751, v128
	v_add_f32_e32 v43, v149, v43
	v_fmamk_f32 v149, v60, 0x3f3d2fb0, v143
	v_fma_f32 v153, 0xbf7ba420, v50, -v152
	v_add_f32_e32 v150, v150, v144
	v_mul_f32_e32 v144, 0x3eb8f4ab, v48
	v_fmamk_f32 v151, v68, 0x3f3d2fb0, v189
	v_add_f32_e32 v43, v149, v43
	v_add_f32_e32 v153, v153, v8
	v_mul_f32_e32 v149, 0xbf06c442, v116
	v_fma_f32 v191, 0x3f6eb680, v52, -v144
	v_mul_f32_e32 v181, 0xbe8c1d8e, v78
	v_mul_f32_e32 v159, 0xbf4c4adb, v125
	;; [unrolled: 1-line block ×3, first 2 shown]
	v_add_f32_e32 v193, v151, v150
	v_add_f32_e32 v151, v191, v153
	v_fma_f32 v153, 0xbf59a7d5, v54, -v149
	v_mul_f32_e32 v150, 0x3f2c7751, v120
	v_fmamk_f32 v162, v64, 0xbf1a4643, v159
	v_fmamk_f32 v192, v148, 0x3f763a35, v181
	;; [unrolled: 1-line block ×3, first 2 shown]
	v_add_f32_e32 v153, v153, v151
	v_fma_f32 v196, 0x3f3d2fb0, v55, -v150
	v_mul_f32_e32 v151, 0xbf4c4adb, v124
	v_mul_f32_e32 v161, 0x3f65296c, v129
	v_add_f32_e32 v194, v162, v43
	v_add_f32_e32 v43, v192, v42
	;; [unrolled: 1-line block ×4, first 2 shown]
	v_fma_f32 v192, 0xbf1a4643, v63, -v151
	v_fmac_f32_e32 v44, 0xbf06c442, v47
	v_fmamk_f32 v195, v69, 0x3ee437d1, v161
	v_mul_f32_e32 v153, 0x3f65296c, v127
	v_fmac_f32_e32 v45, 0x3f65296c, v49
	v_add_f32_e32 v191, v192, v191
	v_fma_f32 v192, 0xbf59a7d5, v50, -v155
	v_add_f32_e32 v44, v44, v9
	v_add_f32_e32 v193, v195, v194
	v_fma_f32 v195, 0x3ee437d1, v65, -v153
	v_mul_f32_e32 v155, 0xbf763a35, v128
	v_add_f32_e32 v192, v192, v8
	v_fma_f32 v172, 0x3ee437d1, v52, -v172
	v_add_f32_e32 v44, v45, v44
	v_fmac_f32_e32 v160, 0xbf7ee86f, v117
	v_add_f32_e32 v191, v195, v191
	v_fma_f32 v45, 0xbe8c1d8e, v68, -v155
	v_add_f32_e32 v172, v172, v192
	v_fma_f32 v185, 0x3dbcf732, v54, -v185
	v_add_f32_e32 v44, v160, v44
	v_fmac_f32_e32 v163, 0x3f4c4adb, v123
	v_mul_f32_e32 v162, 0xbf763a35, v134
	v_add_f32_e32 v191, v45, v191
	v_add_f32_e32 v45, v185, v172
	v_fma_f32 v160, 0xbf1a4643, v55, -v186
	v_add_f32_e32 v44, v163, v44
	v_fmac_f32_e32 v170, 0xbeb8f4ab, v125
	v_fmamk_f32 v194, v74, 0xbe8c1d8e, v162
	v_fma_f32 v186, 0x3f6eb680, v63, -v187
	v_add_f32_e32 v45, v160, v45
	v_mul_f32_e32 v163, 0x3f7ee86f, v148
	v_add_f32_e32 v44, v170, v44
	v_fmac_f32_e32 v175, 0xbe3c28d5, v129
	v_add_f32_e32 v192, v194, v193
	v_add_f32_e32 v45, v186, v45
	v_fma_f32 v170, 0xbf7ba420, v65, -v188
	v_fmamk_f32 v187, v78, 0x3dbcf732, v163
	v_add_f32_e32 v175, v175, v44
	v_fmac_f32_e32 v179, 0x3f2c7751, v134
	v_fmac_f32_e32 v181, 0xbf763a35, v148
	v_add_f32_e32 v170, v170, v45
	v_add_f32_e32 v45, v187, v192
	v_fma_f32 v187, 0x3f3d2fb0, v68, -v189
	v_add_f32_e32 v179, v179, v175
	v_mul_f32_e32 v175, 0xbf4c4adb, v47
	v_fma_f32 v188, 0xbe8c1d8e, v71, -v190
	v_mul_f32_e32 v117, 0xbeb8f4ab, v117
	v_add_f32_e32 v187, v187, v170
	v_mul_f32_e32 v170, 0xbf4c4adb, v46
	v_add_f32_e32 v47, v181, v179
	v_fmamk_f32 v189, v51, 0xbf1a4643, v175
	v_mul_f32_e32 v181, 0x3f763a35, v49
	v_add_f32_e32 v46, v188, v187
	v_fma_f32 v49, 0xbf1a4643, v50, -v170
	v_mul_f32_e32 v179, 0x3f763a35, v48
	v_add_f32_e32 v48, v189, v9
	v_fmamk_f32 v187, v53, 0xbe8c1d8e, v181
	v_mul_f32_e32 v116, 0xbeb8f4ab, v116
	v_add_f32_e32 v49, v49, v8
	v_fma_f32 v188, 0xbe8c1d8e, v52, -v179
	;; [unrolled: 6-line block ×6, first 2 shown]
	v_add_f32_e32 v184, v184, v190
	v_add_f32_e32 v48, v187, v48
	v_mul_f32_e32 v187, 0xbf59a7d5, v53
	v_mul_f32_e32 v128, 0xbe3c28d5, v128
	v_add_f32_e32 v49, v188, v49
	v_mul_f32_e32 v188, 0x3f3d2fb0, v59
	v_fmamk_f32 v190, v74, 0xbf7ba420, v134
	v_mul_f32_e32 v148, 0x3f65296c, v148
	v_add_f32_e32 v183, v183, v187
	v_add_f32_e32 v184, v184, v9
	v_fma_f32 v187, 0xbf7ba420, v68, -v128
	v_add_f32_e32 v48, v190, v48
	v_fmamk_f32 v190, v78, 0x3ee437d1, v148
	v_add_f32_e32 v182, v182, v188
	v_add_f32_e32 v183, v183, v184
	v_mul_f32_e32 v188, 0xbe8c1d8e, v50
	v_add_f32_e32 v187, v187, v49
	v_add_f32_e32 v49, v190, v48
	v_mul_f32_e32 v190, 0x3ee437d1, v60
	v_add_f32_e32 v182, v182, v183
	v_mul_f32_e32 v183, 0xbf59a7d5, v52
	v_sub_f32_e32 v167, v188, v167
	v_mul_f32_e32 v160, 0x3f7ee86f, v138
	v_add_f32_e32 v180, v180, v190
	v_mul_f32_e32 v190, 0xbf7ba420, v64
	v_sub_f32_e32 v173, v183, v173
	v_add_f32_e32 v167, v167, v8
	v_mul_f32_e32 v183, 0x3dbcf732, v51
	v_add_f32_e32 v180, v180, v182
	v_mul_f32_e32 v182, 0x3f3d2fb0, v54
	v_add_f32_e32 v178, v178, v190
	v_add_f32_e32 v167, v173, v167
	v_mul_f32_e32 v173, 0x3dbcf732, v69
	v_add_f32_e32 v157, v157, v183
	v_sub_f32_e32 v171, v182, v171
	v_add_f32_e32 v178, v178, v180
	v_mul_f32_e32 v180, 0x3ee437d1, v55
	v_add_f32_e32 v173, v177, v173
	v_add_f32_e32 v157, v157, v9
	;; [unrolled: 1-line block ×3, first 2 shown]
	v_fma_f32 v44, 0x3dbcf732, v71, -v160
	v_sub_f32_e32 v169, v180, v169
	v_add_f32_e32 v173, v173, v178
	v_mul_f32_e32 v178, 0xbf7ba420, v63
	v_mul_f32_e32 v138, 0x3f65296c, v138
	;; [unrolled: 1-line block ×3, first 2 shown]
	v_add_f32_e32 v167, v169, v167
	v_mul_f32_e32 v169, 0xbf1a4643, v78
	v_sub_f32_e32 v168, v178, v168
	v_add_f32_e32 v11, v11, v9
	v_add_f32_e32 v10, v10, v8
	v_add_f32_e32 v44, v44, v191
	v_add_f32_e32 v169, v174, v169
	v_mul_f32_e32 v174, 0x3dbcf732, v65
	v_add_f32_e32 v167, v168, v167
	v_mul_f32_e32 v168, 0xbf7ba420, v53
	v_fma_f32 v191, 0x3ee437d1, v71, -v138
	v_mul_f32_e32 v188, 0x3dbcf732, v50
	v_sub_f32_e32 v166, v174, v166
	v_mul_f32_e32 v174, 0x3f6eb680, v68
	v_add_f32_e32 v158, v158, v168
	v_add_f32_e32 v171, v176, v171
	;; [unrolled: 1-line block ×4, first 2 shown]
	v_mul_f32_e32 v167, 0xbe8c1d8e, v59
	v_sub_f32_e32 v165, v174, v165
	v_add_f32_e32 v157, v158, v157
	v_mul_f32_e32 v158, 0xbf1a4643, v71
	v_add_f32_e32 v10, v36, v10
	v_add_f32_e32 v156, v156, v167
	;; [unrolled: 1-line block ×3, first 2 shown]
	v_mul_f32_e32 v166, 0x3f6eb680, v60
	v_sub_f32_e32 v158, v158, v164
	v_add_f32_e32 v48, v191, v187
	v_add_f32_e32 v171, v171, v173
	v_mul_f32_e32 v173, 0xbf7ba420, v52
	v_add_f32_e32 v191, v156, v157
	v_add_f32_e32 v154, v154, v166
	;; [unrolled: 1-line block ×3, first 2 shown]
	v_mul_f32_e32 v165, 0x3ee437d1, v64
	v_sub_f32_e32 v137, v188, v137
	v_add_f32_e32 v11, v39, v11
	v_add_f32_e32 v10, v38, v10
	;; [unrolled: 1-line block ×4, first 2 shown]
	v_mul_f32_e32 v165, 0xbf59a7d5, v69
	v_sub_f32_e32 v140, v173, v140
	v_add_f32_e32 v137, v137, v8
	v_add_f32_e32 v11, v29, v11
	;; [unrolled: 1-line block ×3, first 2 shown]
	v_mul_f32_e32 v186, 0x3f3d2fb0, v50
	v_mul_f32_e32 v166, 0xbe8c1d8e, v54
	v_add_f32_e32 v147, v147, v154
	v_add_f32_e32 v146, v146, v165
	;; [unrolled: 1-line block ×3, first 2 shown]
	v_mul_f32_e32 v140, 0xbf1a4643, v74
	v_add_f32_e32 v11, v31, v11
	v_add_f32_e32 v10, v30, v10
	v_mul_f32_e32 v187, 0x3ee437d1, v51
	v_mul_f32_e32 v177, 0x3dbcf732, v52
	v_sub_f32_e32 v136, v166, v136
	v_mul_f32_e32 v166, 0x3f6eb680, v55
	v_add_f32_e32 v146, v146, v147
	v_add_f32_e32 v140, v145, v140
	v_sub_f32_e32 v88, v186, v88
	v_add_f32_e32 v11, v33, v11
	v_add_f32_e32 v10, v32, v10
	v_mul_f32_e32 v178, 0xbf1a4643, v53
	v_mul_f32_e32 v174, 0xbf1a4643, v54
	v_add_f32_e32 v136, v136, v137
	v_sub_f32_e32 v135, v166, v135
	v_add_f32_e32 v140, v140, v146
	v_mul_f32_e32 v146, 0x3ee437d1, v63
	v_add_f32_e32 v121, v121, v187
	v_add_f32_e32 v88, v88, v8
	v_sub_f32_e32 v92, v177, v92
	v_add_f32_e32 v11, v35, v11
	v_add_f32_e32 v10, v34, v10
	v_mul_f32_e32 v185, 0x3f6eb680, v51
	v_add_f32_e32 v157, v169, v171
	v_mul_f32_e32 v171, 0xbf7ba420, v55
	v_add_f32_e32 v135, v135, v136
	v_sub_f32_e32 v132, v146, v132
	v_mul_f32_e32 v146, 0xbf59a7d5, v65
	v_add_f32_e32 v122, v122, v178
	v_add_f32_e32 v121, v121, v9
	;; [unrolled: 1-line block ×3, first 2 shown]
	v_sub_f32_e32 v92, v174, v95
	v_add_f32_e32 v25, v25, v11
	v_add_f32_e32 v10, v24, v10
	v_mul_f32_e32 v184, 0x3ee437d1, v50
	v_mul_f32_e32 v182, 0x3f3d2fb0, v53
	;; [unrolled: 1-line block ×3, first 2 shown]
	v_add_f32_e32 v132, v132, v135
	v_sub_f32_e32 v131, v146, v131
	v_add_f32_e32 v121, v122, v121
	v_mul_f32_e32 v122, 0xbf1a4643, v68
	v_add_f32_e32 v70, v70, v185
	v_add_f32_e32 v88, v92, v88
	v_sub_f32_e32 v92, v171, v93
	v_add_f32_e32 v25, v27, v25
	v_add_f32_e32 v10, v26, v10
	v_fma_f32 v26, 0xbf7ba420, v51, -v133
	v_mul_f32_e32 v176, 0xbf1a4643, v52
	v_mul_f32_e32 v168, 0x3ee437d1, v59
	;; [unrolled: 1-line block ×3, first 2 shown]
	v_add_f32_e32 v131, v131, v132
	v_sub_f32_e32 v122, v122, v130
	v_sub_f32_e32 v110, v184, v110
	v_add_f32_e32 v70, v70, v9
	v_add_f32_e32 v93, v76, v182
	;; [unrolled: 1-line block ×3, first 2 shown]
	v_sub_f32_e32 v92, v137, v94
	v_add_f32_e32 v21, v21, v25
	v_add_f32_e32 v10, v20, v10
	;; [unrolled: 1-line block ×3, first 2 shown]
	v_fma_f32 v25, 0x3f6eb680, v53, -v139
	v_add_f32_e32 v122, v122, v131
	v_mul_f32_e32 v131, 0x3ee437d1, v68
	v_sub_f32_e32 v111, v176, v111
	v_add_f32_e32 v110, v110, v8
	v_add_f32_e32 v70, v93, v70
	;; [unrolled: 1-line block ×4, first 2 shown]
	v_sub_f32_e32 v85, v146, v85
	v_add_f32_e32 v21, v23, v21
	v_add_f32_e32 v10, v22, v10
	v_add_f32_e32 v20, v25, v20
	v_fma_f32 v22, 0xbf59a7d5, v59, -v142
	v_add_f32_e32 v110, v111, v110
	v_mul_f32_e32 v111, 0x3f6eb680, v71
	v_add_f32_e32 v36, v72, v70
	v_add_f32_e32 v70, v85, v88
	v_sub_f32_e32 v38, v131, v86
	v_add_f32_e32 v17, v17, v21
	v_add_f32_e32 v10, v16, v10
	v_add_f32_e32 v16, v22, v20
	v_fma_f32 v20, 0x3f3d2fb0, v60, -v143
	v_mul_f32_e32 v172, 0x3f6eb680, v50
	v_mul_f32_e32 v169, 0x3dbcf732, v60
	v_add_f32_e32 v28, v38, v70
	v_sub_f32_e32 v29, v111, v87
	v_add_f32_e32 v17, v19, v17
	v_add_f32_e32 v10, v18, v10
	v_add_f32_e32 v16, v20, v16
	v_fma_f32 v18, 0xbf1a4643, v64, -v159
	v_mul_f32_e32 v190, 0x3f3d2fb0, v52
	v_add_f32_e32 v37, v75, v169
	v_add_f32_e32 v75, v29, v28
	v_sub_f32_e32 v28, v172, v62
	v_add_f32_e32 v13, v13, v17
	v_add_f32_e32 v12, v12, v10
	;; [unrolled: 1-line block ×3, first 2 shown]
	v_fma_f32 v17, 0x3ee437d1, v69, -v161
	v_mul_f32_e32 v189, 0x3f3d2fb0, v51
	v_mul_f32_e32 v183, 0x3ee437d1, v54
	v_add_f32_e32 v28, v28, v8
	v_sub_f32_e32 v31, v190, v61
	v_add_f32_e32 v13, v15, v13
	v_add_f32_e32 v12, v14, v12
	;; [unrolled: 1-line block ×3, first 2 shown]
	v_fma_f32 v15, 0xbe8c1d8e, v74, -v162
	v_mul_f32_e32 v180, 0x3dbcf732, v53
	v_mul_f32_e32 v192, 0xbf7ba420, v59
	v_add_f32_e32 v101, v101, v189
	v_fmac_f32_e32 v152, 0xbf7ba420, v50
	v_mul_f32_e32 v158, 0x3dbcf732, v55
	v_add_f32_e32 v24, v31, v28
	v_sub_f32_e32 v28, v183, v66
	v_add_f32_e32 v14, v15, v14
	v_fma_f32 v15, 0xbf1a4643, v51, -v175
	v_fmac_f32_e32 v170, 0xbf1a4643, v50
	v_mul_f32_e32 v167, 0xbf1a4643, v59
	v_mul_f32_e32 v164, 0xbf7ba420, v54
	v_mul_f32_e32 v165, 0xbe8c1d8e, v60
	v_add_f32_e32 v119, v119, v192
	v_add_f32_e32 v100, v100, v180
	;; [unrolled: 1-line block ×4, first 2 shown]
	v_fmac_f32_e32 v144, 0x3f6eb680, v52
	v_mul_f32_e32 v147, 0xbe8c1d8e, v63
	v_add_f32_e32 v24, v28, v24
	v_sub_f32_e32 v27, v158, v67
	v_add_f32_e32 v9, v15, v9
	v_fma_f32 v15, 0xbe8c1d8e, v53, -v181
	v_add_f32_e32 v8, v170, v8
	v_fmac_f32_e32 v179, 0xbe8c1d8e, v52
	v_mul_f32_e32 v173, 0xbf7ba420, v60
	v_mul_f32_e32 v154, 0xbe8c1d8e, v55
	;; [unrolled: 1-line block ×3, first 2 shown]
	v_add_f32_e32 v119, v119, v121
	v_add_f32_e32 v118, v118, v165
	v_sub_f32_e32 v109, v164, v109
	v_add_f32_e32 v100, v100, v191
	v_add_f32_e32 v96, v96, v167
	v_add_f32_e32 v16, v144, v16
	v_fmac_f32_e32 v149, 0xbf59a7d5, v54
	v_mul_f32_e32 v145, 0xbe8c1d8e, v64
	v_mul_f32_e32 v178, 0xbf1a4643, v65
	v_add_f32_e32 v24, v27, v24
	v_sub_f32_e32 v26, v147, v73
	v_add_f32_e32 v9, v15, v9
	v_fma_f32 v15, 0x3f6eb680, v59, -v117
	v_add_f32_e32 v8, v179, v8
	v_fmac_f32_e32 v116, 0x3f6eb680, v54
	v_mul_f32_e32 v166, 0xbf59a7d5, v64
	v_mul_f32_e32 v136, 0x3f3d2fb0, v63
	;; [unrolled: 1-line block ×3, first 2 shown]
	v_add_f32_e32 v118, v118, v119
	v_add_f32_e32 v114, v114, v187
	;; [unrolled: 1-line block ×3, first 2 shown]
	v_sub_f32_e32 v104, v154, v104
	v_add_f32_e32 v96, v96, v100
	v_add_f32_e32 v97, v97, v173
	;; [unrolled: 1-line block ×3, first 2 shown]
	v_fmac_f32_e32 v150, 0x3f3d2fb0, v55
	v_mul_f32_e32 v135, 0xbf1a4643, v69
	v_mul_f32_e32 v130, 0x3f3d2fb0, v78
	;; [unrolled: 1-line block ×4, first 2 shown]
	v_add_f32_e32 v36, v37, v36
	v_add_f32_e32 v37, v79, v145
	;; [unrolled: 1-line block ×3, first 2 shown]
	v_sub_f32_e32 v24, v178, v77
	v_add_f32_e32 v9, v15, v9
	v_fma_f32 v15, 0xbf59a7d5, v60, -v123
	v_add_f32_e32 v8, v116, v8
	v_fmac_f32_e32 v120, 0xbf59a7d5, v55
	v_mul_f32_e32 v188, 0xbe8c1d8e, v69
	v_mul_f32_e32 v132, 0x3f6eb680, v65
	v_mul_f32_e32 v176, 0x3dbcf732, v74
	v_add_f32_e32 v114, v114, v118
	v_add_f32_e32 v112, v112, v121
	;; [unrolled: 1-line block ×3, first 2 shown]
	v_sub_f32_e32 v107, v136, v107
	v_add_f32_e32 v96, v97, v96
	v_add_f32_e32 v97, v99, v166
	;; [unrolled: 1-line block ×3, first 2 shown]
	v_fmac_f32_e32 v151, 0xbf1a4643, v63
	v_add_f32_e32 v130, v141, v130
	v_mul_f32_e32 v141, 0xbf59a7d5, v74
	v_sub_f32_e32 v126, v184, v126
	v_mul_f32_e32 v184, 0xbf7ba420, v71
	v_add_f32_e32 v36, v37, v36
	v_add_f32_e32 v30, v82, v135
	;; [unrolled: 1-line block ×3, first 2 shown]
	v_sub_f32_e32 v22, v165, v80
	v_add_f32_e32 v9, v15, v9
	v_fma_f32 v15, 0x3dbcf732, v64, -v125
	v_add_f32_e32 v8, v120, v8
	v_fmac_f32_e32 v124, 0x3dbcf732, v63
	v_mul_f32_e32 v119, 0x3ee437d1, v74
	v_mul_f32_e32 v187, 0x3dbcf732, v68
	;; [unrolled: 1-line block ×3, first 2 shown]
	v_add_f32_e32 v110, v112, v114
	v_add_f32_e32 v112, v113, v176
	;; [unrolled: 1-line block ×3, first 2 shown]
	v_sub_f32_e32 v107, v132, v108
	v_add_f32_e32 v97, v97, v96
	v_add_f32_e32 v98, v98, v188
	;; [unrolled: 1-line block ×3, first 2 shown]
	v_fmac_f32_e32 v153, 0x3ee437d1, v65
	v_mul_f32_e32 v118, 0xbf7ba420, v78
	v_add_f32_e32 v29, v30, v36
	v_add_f32_e32 v30, v83, v141
	;; [unrolled: 1-line block ×3, first 2 shown]
	v_sub_f32_e32 v20, v184, v81
	v_add_f32_e32 v9, v15, v9
	v_fma_f32 v15, 0x3f3d2fb0, v69, -v129
	v_add_f32_e32 v8, v124, v8
	v_fmac_f32_e32 v127, 0x3f3d2fb0, v65
	v_mul_f32_e32 v189, 0x3f6eb680, v78
	v_mul_f32_e32 v164, 0xbf59a7d5, v71
	v_add_f32_e32 v109, v112, v110
	v_add_f32_e32 v99, v115, v180
	;; [unrolled: 1-line block ×3, first 2 shown]
	v_sub_f32_e32 v106, v187, v106
	v_add_f32_e32 v97, v98, v97
	v_add_f32_e32 v98, v102, v119
	;; [unrolled: 1-line block ×3, first 2 shown]
	v_fmac_f32_e32 v155, 0xbe8c1d8e, v68
	v_add_f32_e32 v29, v30, v29
	v_add_f32_e32 v30, v84, v118
	;; [unrolled: 1-line block ×4, first 2 shown]
	v_fma_f32 v15, 0xbf7ba420, v74, -v134
	v_add_f32_e32 v8, v127, v8
	v_fmac_f32_e32 v128, 0xbf7ba420, v68
	v_mul_lo_u16 v18, v91, 17
	v_mov_b32_e32 v19, 3
	v_add_f32_e32 v96, v99, v109
	v_add_f32_e32 v99, v106, v104
	v_sub_f32_e32 v95, v164, v105
	v_add_f32_e32 v97, v98, v97
	v_add_f32_e32 v98, v103, v189
	v_fma_f32 v17, 0x3dbcf732, v78, -v163
	v_add_f32_e32 v16, v155, v16
	v_fmac_f32_e32 v160, 0x3dbcf732, v71
	v_add_f32_e32 v11, v30, v29
	v_add_f32_e32 v13, v41, v13
	;; [unrolled: 1-line block ×4, first 2 shown]
	v_fma_f32 v20, 0x3ee437d1, v78, -v148
	v_add_f32_e32 v21, v128, v8
	v_fmac_f32_e32 v138, 0x3ee437d1, v71
	v_lshlrev_b32_sdwa v18, v19, v18 dst_sel:DWORD dst_unused:UNUSED_PAD src0_sel:DWORD src1_sel:WORD_0
	v_add_f32_e32 v95, v95, v99
	v_add_f32_e32 v76, v98, v97
	;; [unrolled: 1-line block ×8, first 2 shown]
	ds_write2_b64 v18, v[12:13], v[10:11] offset1:1
	ds_write2_b64 v18, v[75:76], v[95:96] offset0:2 offset1:3
	ds_write2_b64 v18, v[100:101], v[156:157] offset0:4 offset1:5
	;; [unrolled: 1-line block ×7, first 2 shown]
	ds_write_b64 v18, v[57:58] offset:128
.LBB0_7:
	s_or_b32 exec_lo, exec_lo, s4
	v_and_b32_e32 v8, 0xff, v91
	v_add_nc_u16 v9, v91, 51
	v_add_nc_u16 v10, v91, 0x66
	s_load_dwordx4 s[4:7], s[2:3], 0x0
	s_waitcnt lgkmcnt(0)
	v_mul_lo_u16 v8, 0xf1, v8
	v_and_b32_e32 v11, 0xff, v9
	v_and_b32_e32 v12, 0xff, v10
	s_barrier
	buffer_gl0_inv
	v_lshrrev_b16 v44, 12, v8
	v_add_nc_u16 v8, v91, 0x99
	v_mul_lo_u16 v11, 0xf1, v11
	v_mul_lo_u16 v12, 0xf1, v12
	v_mov_b32_e32 v54, 3
	v_mul_lo_u16 v13, v44, 17
	v_and_b32_e32 v14, 0xff, v8
	v_lshrrev_b16 v45, 12, v11
	v_lshrrev_b16 v47, 12, v12
	v_lshlrev_b32_sdwa v92, v54, v91 dst_sel:DWORD dst_unused:UNUSED_PAD src0_sel:DWORD src1_sel:WORD_0
	v_sub_nc_u16 v46, v91, v13
	v_mul_lo_u16 v11, 0xf1, v14
	v_mul_lo_u16 v12, v45, 17
	v_mov_b32_e32 v55, 51
	v_add_nc_u32_e32 v73, 0x800, v92
	v_lshlrev_b16 v13, 1, v46
	v_lshrrev_b16 v48, 12, v11
	v_mul_lo_u16 v11, v47, 17
	v_sub_nc_u16 v9, v9, v12
	v_add_nc_u32_e32 v74, 0xc00, v92
	v_and_b32_e32 v12, 0xfe, v13
	v_mul_lo_u16 v13, v48, 17
	v_sub_nc_u16 v10, v10, v11
	v_and_b32_e32 v49, 0xff, v9
	v_mad_u16 v59, v44, 51, v46
	v_lshlrev_b32_e32 v9, 3, v12
	v_sub_nc_u16 v8, v8, v13
	v_and_b32_e32 v50, 0xff, v10
	v_lshlrev_b32_e32 v10, 4, v49
	v_mul_u32_u24_sdwa v60, v45, v55 dst_sel:DWORD dst_unused:UNUSED_PAD src0_sel:WORD_0 src1_sel:DWORD
	global_load_dwordx4 v[16:19], v9, s[0:1]
	v_and_b32_e32 v51, 0xff, v8
	v_lshlrev_b32_e32 v8, 4, v50
	global_load_dwordx4 v[20:23], v10, s[0:1]
	v_mul_u32_u24_sdwa v61, v47, v55 dst_sel:DWORD dst_unused:UNUSED_PAD src0_sel:WORD_0 src1_sel:DWORD
	v_mul_u32_u24_sdwa v48, v48, v55 dst_sel:DWORD dst_unused:UNUSED_PAD src0_sel:WORD_0 src1_sel:DWORD
	v_lshlrev_b32_e32 v9, 4, v51
	v_add_lshl_u32 v96, v60, v49, 3
	v_lshlrev_b32_sdwa v97, v54, v59 dst_sel:DWORD dst_unused:UNUSED_PAD src0_sel:DWORD src1_sel:BYTE_0
	s_clause 0x1
	global_load_dwordx4 v[12:15], v8, s[0:1]
	global_load_dwordx4 v[8:11], v9, s[0:1]
	ds_read2_b64 v[24:27], v92 offset0:204 offset1:255
	ds_read2_b64 v[28:31], v73 offset0:152 offset1:203
	ds_read2_b64 v[32:35], v92 offset1:51
	ds_read2_b64 v[36:39], v73 offset0:50 offset1:101
	ds_read2_b64 v[40:43], v74 offset0:126 offset1:177
	;; [unrolled: 1-line block ×3, first 2 shown]
	v_add_lshl_u32 v95, v61, v50, 3
	v_add_lshl_u32 v94, v48, v51, 3
	v_mad_u64_u32 v[52:53], null, v91, 40, s[0:1]
	s_waitcnt vmcnt(0) lgkmcnt(0)
	s_barrier
	buffer_gl0_inv
	v_lshlrev_b32_e32 v93, 3, v91
	v_mul_f32_e32 v48, v25, v17
	v_mul_f32_e32 v49, v24, v17
	v_mul_f32_e32 v50, v29, v19
	v_mul_f32_e32 v51, v28, v19
	v_mul_f32_e32 v54, v27, v21
	v_mul_f32_e32 v55, v26, v21
	v_mul_f32_e32 v59, v31, v23
	v_mul_f32_e32 v60, v30, v23
	v_fma_f32 v24, v24, v16, -v48
	v_mul_f32_e32 v61, v37, v13
	v_mul_f32_e32 v62, v36, v13
	;; [unrolled: 1-line block ×8, first 2 shown]
	v_fmac_f32_e32 v49, v25, v16
	v_fma_f32 v25, v28, v18, -v50
	v_fmac_f32_e32 v51, v29, v18
	v_fma_f32 v26, v26, v20, -v54
	;; [unrolled: 2-line block ×7, first 2 shown]
	v_fmac_f32_e32 v68, v43, v10
	v_add_f32_e32 v37, v24, v25
	v_add_f32_e32 v40, v49, v51
	;; [unrolled: 1-line block ×5, first 2 shown]
	v_sub_f32_e32 v61, v62, v64
	v_add_f32_e32 v63, v45, v62
	v_add_f32_e32 v62, v62, v64
	;; [unrolled: 1-line block ×3, first 2 shown]
	v_sub_f32_e32 v39, v49, v51
	v_add_f32_e32 v38, v33, v49
	v_sub_f32_e32 v41, v24, v25
	v_add_f32_e32 v42, v34, v26
	;; [unrolled: 2-line block ×6, first 2 shown]
	v_add_f32_e32 v66, v66, v68
	v_fma_f32 v26, -0.5, v37, v32
	v_fma_f32 v27, -0.5, v40, v33
	;; [unrolled: 1-line block ×3, first 2 shown]
	v_fmac_f32_e32 v35, -0.5, v50
	v_fma_f32 v32, -0.5, v59, v44
	v_fma_f32 v33, -0.5, v62, v45
	v_add_f32_e32 v67, v46, v29
	v_sub_f32_e32 v72, v29, v36
	v_add_f32_e32 v24, v31, v25
	v_add_f32_e32 v25, v38, v51
	v_fma_f32 v46, -0.5, v69, v46
	v_fmac_f32_e32 v47, -0.5, v66
	v_fmamk_f32 v38, v39, 0x3f5db3d7, v26
	v_fmac_f32_e32 v26, 0xbf5db3d7, v39
	v_fmamk_f32 v39, v41, 0xbf5db3d7, v27
	v_fmac_f32_e32 v27, 0x3f5db3d7, v41
	v_add_f32_e32 v28, v42, v28
	v_add_f32_e32 v29, v49, v60
	v_fmamk_f32 v40, v48, 0x3f5db3d7, v34
	v_fmamk_f32 v41, v54, 0xbf5db3d7, v35
	v_fmac_f32_e32 v34, 0xbf5db3d7, v48
	v_fmac_f32_e32 v35, 0x3f5db3d7, v54
	v_add_f32_e32 v30, v55, v30
	v_add_f32_e32 v31, v63, v64
	v_fmamk_f32 v42, v61, 0x3f5db3d7, v32
	v_fmamk_f32 v43, v65, 0xbf5db3d7, v33
	v_add_f32_e32 v36, v67, v36
	v_add_f32_e32 v37, v71, v68
	v_fmac_f32_e32 v32, 0xbf5db3d7, v61
	v_fmac_f32_e32 v33, 0x3f5db3d7, v65
	v_fmamk_f32 v44, v70, 0x3f5db3d7, v46
	v_fmac_f32_e32 v46, 0xbf5db3d7, v70
	v_fmamk_f32 v45, v72, 0xbf5db3d7, v47
	v_fmac_f32_e32 v47, 0x3f5db3d7, v72
	ds_write2_b64 v97, v[24:25], v[38:39] offset1:17
	ds_write_b64 v97, v[26:27] offset:272
	ds_write2_b64 v96, v[28:29], v[40:41] offset1:17
	ds_write_b64 v96, v[34:35] offset:272
	;; [unrolled: 2-line block ×4, first 2 shown]
	s_waitcnt lgkmcnt(0)
	s_barrier
	buffer_gl0_inv
	s_clause 0x2
	global_load_dwordx4 v[28:31], v[52:53], off offset:272
	global_load_dwordx4 v[24:27], v[52:53], off offset:288
	global_load_dwordx2 v[59:60], v[52:53], off offset:304
	ds_read2_b64 v[32:35], v92 offset0:102 offset1:153
	ds_read2_b64 v[36:39], v92 offset0:204 offset1:255
	;; [unrolled: 1-line block ×5, first 2 shown]
	v_lshlrev_b32_e32 v54, 5, v91
	v_sub_co_u32 v69, s0, v52, v54
	v_subrev_co_ci_u32_e64 v70, s0, 0, v53, s0
	ds_read2_b64 v[52:55], v92 offset1:51
	v_add_co_u32 v67, s0, 0x800, v69
	v_add_co_ci_u32_e64 v68, s0, 0, v70, s0
	s_waitcnt vmcnt(0) lgkmcnt(0)
	s_barrier
	buffer_gl0_inv
	v_mul_f32_e32 v61, v33, v29
	v_mul_f32_e32 v62, v32, v29
	;; [unrolled: 1-line block ×20, first 2 shown]
	v_fma_f32 v61, v32, v28, -v61
	v_fmac_f32_e32 v62, v33, v28
	v_fma_f32 v32, v36, v30, -v63
	v_fmac_f32_e32 v64, v37, v30
	;; [unrolled: 2-line block ×3, first 2 shown]
	v_fma_f32 v36, v44, v26, -v71
	v_fma_f32 v37, v48, v59, -v75
	v_fmac_f32_e32 v76, v49, v59
	v_fmac_f32_e32 v72, v45, v26
	;; [unrolled: 1-line block ×4, first 2 shown]
	v_fma_f32 v35, v42, v24, -v81
	v_fmac_f32_e32 v82, v43, v24
	v_fmac_f32_e32 v84, v47, v26
	v_fma_f32 v39, v50, v59, -v85
	v_fmac_f32_e32 v86, v51, v59
	v_fma_f32 v40, v34, v28, -v77
	v_fma_f32 v34, v38, v30, -v79
	;; [unrolled: 1-line block ×3, first 2 shown]
	v_add_f32_e32 v42, v32, v36
	v_add_f32_e32 v47, v33, v37
	;; [unrolled: 1-line block ×4, first 2 shown]
	v_sub_f32_e32 v43, v64, v72
	v_add_f32_e32 v44, v53, v64
	v_add_f32_e32 v45, v64, v72
	;; [unrolled: 1-line block ×3, first 2 shown]
	v_sub_f32_e32 v48, v66, v76
	v_add_f32_e32 v49, v62, v66
	v_sub_f32_e32 v64, v80, v84
	v_add_f32_e32 v65, v55, v80
	v_add_f32_e32 v66, v80, v84
	;; [unrolled: 1-line block ×4, first 2 shown]
	v_sub_f32_e32 v33, v33, v37
	v_add_f32_e32 v51, v54, v34
	v_add_f32_e32 v63, v34, v38
	v_sub_f32_e32 v71, v34, v38
	v_add_f32_e32 v34, v40, v35
	v_add_f32_e32 v79, v78, v82
	v_fma_f32 v52, -0.5, v42, v52
	v_fmac_f32_e32 v61, -0.5, v47
	v_fmac_f32_e32 v62, -0.5, v50
	v_sub_f32_e32 v32, v32, v36
	v_sub_f32_e32 v77, v82, v86
	;; [unrolled: 1-line block ×3, first 2 shown]
	v_add_f32_e32 v35, v41, v36
	v_add_f32_e32 v36, v44, v72
	v_fma_f32 v53, -0.5, v45, v53
	v_add_f32_e32 v37, v46, v37
	v_add_f32_e32 v41, v49, v76
	v_fmac_f32_e32 v40, -0.5, v75
	v_fmac_f32_e32 v78, -0.5, v80
	v_add_f32_e32 v38, v51, v38
	v_add_f32_e32 v42, v65, v84
	;; [unrolled: 1-line block ×4, first 2 shown]
	v_fmamk_f32 v45, v43, 0x3f5db3d7, v52
	v_fmac_f32_e32 v52, 0xbf5db3d7, v43
	v_fmamk_f32 v43, v48, 0x3f5db3d7, v61
	v_fmamk_f32 v46, v33, 0xbf5db3d7, v62
	v_fmac_f32_e32 v61, 0xbf5db3d7, v48
	v_fmac_f32_e32 v62, 0x3f5db3d7, v33
	v_fma_f32 v54, -0.5, v63, v54
	v_fmac_f32_e32 v55, -0.5, v66
	v_fmamk_f32 v47, v32, 0xbf5db3d7, v53
	v_fmac_f32_e32 v53, 0x3f5db3d7, v32
	v_add_f32_e32 v32, v35, v37
	v_add_f32_e32 v33, v36, v41
	v_sub_f32_e32 v34, v35, v37
	v_sub_f32_e32 v35, v36, v41
	v_fmamk_f32 v41, v77, 0x3f5db3d7, v40
	v_fmamk_f32 v48, v81, 0xbf5db3d7, v78
	v_fmac_f32_e32 v40, 0xbf5db3d7, v77
	v_fmac_f32_e32 v78, 0x3f5db3d7, v81
	v_add_f32_e32 v36, v38, v39
	v_add_f32_e32 v37, v42, v44
	v_sub_f32_e32 v38, v38, v39
	v_sub_f32_e32 v39, v42, v44
	v_mul_f32_e32 v44, 0x3f5db3d7, v46
	v_mul_f32_e32 v50, 0xbf5db3d7, v43
	v_mul_f32_e32 v49, -0.5, v61
	v_mul_f32_e32 v51, -0.5, v62
	v_fmamk_f32 v63, v64, 0x3f5db3d7, v54
	v_fmac_f32_e32 v54, 0xbf5db3d7, v64
	v_fmamk_f32 v64, v71, 0xbf5db3d7, v55
	v_fmac_f32_e32 v55, 0x3f5db3d7, v71
	v_mul_f32_e32 v65, 0x3f5db3d7, v48
	v_mul_f32_e32 v71, 0xbf5db3d7, v41
	v_mul_f32_e32 v66, -0.5, v40
	v_mul_f32_e32 v72, -0.5, v78
	v_fmac_f32_e32 v44, 0.5, v43
	v_fmac_f32_e32 v50, 0.5, v46
	v_fmac_f32_e32 v49, 0x3f5db3d7, v62
	v_fmac_f32_e32 v51, 0xbf5db3d7, v61
	v_fmac_f32_e32 v65, 0.5, v41
	v_fmac_f32_e32 v71, 0.5, v48
	v_fmac_f32_e32 v66, 0x3f5db3d7, v78
	v_fmac_f32_e32 v72, 0xbf5db3d7, v40
	v_add_f32_e32 v40, v45, v44
	v_add_f32_e32 v41, v47, v50
	;; [unrolled: 1-line block ×4, first 2 shown]
	v_sub_f32_e32 v44, v45, v44
	v_sub_f32_e32 v46, v52, v49
	v_sub_f32_e32 v45, v47, v50
	v_sub_f32_e32 v47, v53, v51
	v_add_f32_e32 v48, v63, v65
	v_add_f32_e32 v49, v64, v71
	;; [unrolled: 1-line block ×4, first 2 shown]
	v_sub_f32_e32 v52, v63, v65
	v_sub_f32_e32 v54, v54, v66
	;; [unrolled: 1-line block ×4, first 2 shown]
	ds_write2_b64 v92, v[32:33], v[40:41] offset1:51
	ds_write2_b64 v92, v[42:43], v[34:35] offset0:102 offset1:153
	ds_write2_b64 v92, v[44:45], v[46:47] offset0:204 offset1:255
	ds_write2_b64 v73, v[36:37], v[48:49] offset0:50 offset1:101
	ds_write2_b64 v73, v[50:51], v[38:39] offset0:152 offset1:203
	ds_write2_b64 v74, v[52:53], v[54:55] offset0:126 offset1:177
	v_add_co_u32 v32, s0, 0x1000, v69
	v_add_co_ci_u32_e64 v33, s0, 0, v70, s0
	s_waitcnt lgkmcnt(0)
	s_barrier
	buffer_gl0_inv
	s_clause 0x5
	global_load_dwordx2 v[63:64], v[67:68], off offset:264
	global_load_dwordx2 v[65:66], v[67:68], off offset:672
	;; [unrolled: 1-line block ×6, first 2 shown]
	ds_read2_b64 v[32:35], v73 offset0:50 offset1:101
	ds_read2_b64 v[36:39], v73 offset0:152 offset1:203
	ds_read2_b64 v[40:43], v74 offset0:126 offset1:177
	ds_read2_b64 v[75:78], v92 offset1:51
	ds_read2_b64 v[79:82], v92 offset0:102 offset1:153
	ds_read2_b64 v[83:86], v92 offset0:204 offset1:255
	s_waitcnt vmcnt(5) lgkmcnt(5)
	v_mul_f32_e32 v44, v33, v64
	v_mul_f32_e32 v45, v32, v64
	s_waitcnt vmcnt(4)
	v_mul_f32_e32 v46, v35, v66
	v_mul_f32_e32 v47, v34, v66
	s_waitcnt vmcnt(3) lgkmcnt(4)
	v_mul_f32_e32 v48, v37, v62
	v_mul_f32_e32 v49, v36, v62
	s_waitcnt vmcnt(2)
	v_mul_f32_e32 v50, v39, v72
	v_mul_f32_e32 v51, v38, v72
	;; [unrolled: 6-line block ×3, first 2 shown]
	v_fma_f32 v32, v32, v63, -v44
	v_fmac_f32_e32 v45, v33, v63
	v_fma_f32 v33, v34, v65, -v46
	v_fmac_f32_e32 v47, v35, v65
	;; [unrolled: 2-line block ×6, first 2 shown]
	s_waitcnt lgkmcnt(2)
	v_sub_f32_e32 v34, v75, v32
	v_sub_f32_e32 v35, v76, v45
	v_sub_f32_e32 v46, v77, v33
	v_sub_f32_e32 v47, v78, v47
	s_waitcnt lgkmcnt(1)
	v_sub_f32_e32 v42, v79, v36
	v_sub_f32_e32 v43, v80, v49
	v_sub_f32_e32 v54, v81, v37
	v_sub_f32_e32 v55, v82, v51
	;; [unrolled: 5-line block ×3, first 2 shown]
	v_fma_f32 v32, v75, 2.0, -v34
	v_fma_f32 v33, v76, 2.0, -v35
	;; [unrolled: 1-line block ×12, first 2 shown]
	ds_write2_b64 v73, v[34:35], v[46:47] offset0:50 offset1:101
	ds_write2_b64 v73, v[42:43], v[54:55] offset0:152 offset1:203
	;; [unrolled: 1-line block ×3, first 2 shown]
	ds_write2_b64 v92, v[32:33], v[44:45] offset1:51
	ds_write2_b64 v92, v[40:41], v[52:53] offset0:102 offset1:153
	ds_write2_b64 v92, v[48:49], v[36:37] offset0:204 offset1:255
	s_waitcnt lgkmcnt(0)
	s_barrier
	buffer_gl0_inv
	s_and_saveexec_b32 s1, vcc_lo
	s_cbranch_execz .LBB0_9
; %bb.8:
	s_add_u32 s2, s12, 0x1320
	s_addc_u32 s3, s13, 0
	v_add_co_u32 v77, s0, s2, v90
	s_clause 0x1
	global_load_dwordx2 v[73:74], v90, s[2:3]
	global_load_dwordx2 v[114:115], v90, s[2:3] offset:288
	v_add_co_ci_u32_e64 v78, null, s3, 0, s0
	v_add_co_u32 v75, s0, 0x800, v77
	s_clause 0x3
	global_load_dwordx2 v[116:117], v90, s[2:3] offset:576
	global_load_dwordx2 v[118:119], v90, s[2:3] offset:864
	global_load_dwordx2 v[120:121], v90, s[2:3] offset:1152
	global_load_dwordx2 v[122:123], v90, s[2:3] offset:1440
	v_add_co_ci_u32_e64 v76, s0, 0, v78, s0
	v_add_co_u32 v77, s0, 0x1000, v77
	v_add_co_ci_u32_e64 v78, s0, 0, v78, s0
	v_or_b32_e32 v79, 0x1200, v90
	s_clause 0xa
	global_load_dwordx2 v[124:125], v90, s[2:3] offset:1728
	global_load_dwordx2 v[126:127], v90, s[2:3] offset:2016
	global_load_dwordx2 v[128:129], v[75:76], off offset:256
	global_load_dwordx2 v[130:131], v[75:76], off offset:544
	;; [unrolled: 1-line block ×8, first 2 shown]
	global_load_dwordx2 v[144:145], v79, s[2:3]
	ds_read_b64 v[75:76], v92
	v_add_nc_u32_e32 v147, 0x400, v93
	v_add_nc_u32_e32 v148, 0x800, v93
	;; [unrolled: 1-line block ×3, first 2 shown]
	s_waitcnt vmcnt(16) lgkmcnt(0)
	v_mul_f32_e32 v77, v76, v74
	v_mul_f32_e32 v78, v75, v74
	v_fma_f32 v77, v75, v73, -v77
	v_fmac_f32_e32 v78, v76, v73
	ds_write_b64 v92, v[77:78]
	ds_read2_b64 v[73:76], v93 offset0:36 offset1:72
	ds_read2_b64 v[77:80], v93 offset0:108 offset1:144
	;; [unrolled: 1-line block ×8, first 2 shown]
	s_waitcnt vmcnt(15) lgkmcnt(7)
	v_mul_f32_e32 v150, v74, v115
	v_mul_f32_e32 v146, v73, v115
	s_waitcnt vmcnt(14)
	v_mul_f32_e32 v151, v76, v117
	v_mul_f32_e32 v115, v75, v117
	s_waitcnt vmcnt(13) lgkmcnt(6)
	v_mul_f32_e32 v152, v78, v119
	v_mul_f32_e32 v117, v77, v119
	s_waitcnt vmcnt(12)
	v_mul_f32_e32 v153, v80, v121
	v_mul_f32_e32 v119, v79, v121
	;; [unrolled: 6-line block ×8, first 2 shown]
	v_fma_f32 v145, v73, v114, -v150
	v_fmac_f32_e32 v146, v74, v114
	v_fma_f32 v114, v75, v116, -v151
	v_fmac_f32_e32 v115, v76, v116
	v_fma_f32 v116, v77, v118, -v152
	v_fmac_f32_e32 v117, v78, v118
	v_fma_f32 v118, v79, v120, -v153
	v_fmac_f32_e32 v119, v80, v120
	v_fma_f32 v120, v81, v122, -v154
	v_fmac_f32_e32 v121, v82, v122
	v_fma_f32 v122, v83, v124, -v155
	v_fmac_f32_e32 v123, v84, v124
	v_fma_f32 v124, v85, v126, -v156
	v_fmac_f32_e32 v125, v86, v126
	v_fma_f32 v126, v87, v128, -v157
	v_fmac_f32_e32 v127, v88, v128
	v_fma_f32 v128, v98, v130, -v158
	v_fmac_f32_e32 v129, v99, v130
	v_fma_f32 v130, v100, v132, -v159
	v_fmac_f32_e32 v131, v101, v132
	v_fma_f32 v132, v102, v134, -v160
	v_fmac_f32_e32 v133, v103, v134
	v_fma_f32 v134, v104, v136, -v161
	v_fmac_f32_e32 v135, v105, v136
	v_fma_f32 v136, v106, v138, -v162
	v_fmac_f32_e32 v137, v107, v138
	v_fma_f32 v138, v108, v140, -v163
	v_fmac_f32_e32 v139, v109, v140
	v_fma_f32 v140, v110, v142, -v164
	v_fmac_f32_e32 v141, v111, v142
	v_fma_f32 v142, v112, v144, -v165
	v_fmac_f32_e32 v143, v113, v144
	ds_write2_b64 v93, v[145:146], v[114:115] offset0:36 offset1:72
	ds_write2_b64 v93, v[116:117], v[118:119] offset0:108 offset1:144
	;; [unrolled: 1-line block ×8, first 2 shown]
.LBB0_9:
	s_or_b32 exec_lo, exec_lo, s1
	s_waitcnt lgkmcnt(0)
	s_barrier
	buffer_gl0_inv
	s_and_saveexec_b32 s0, vcc_lo
	s_cbranch_execz .LBB0_11
; %bb.10:
	v_add_nc_u32_e32 v0, 0x800, v92
	v_add_nc_u32_e32 v1, 0xc00, v92
	ds_read2_b64 v[32:35], v92 offset1:36
	ds_read2_b64 v[44:47], v92 offset0:72 offset1:108
	ds_read2_b64 v[40:43], v92 offset0:144 offset1:180
	;; [unrolled: 1-line block ×7, first 2 shown]
	ds_read_b64 v[57:58], v92 offset:4608
.LBB0_11:
	s_or_b32 exec_lo, exec_lo, s0
	s_waitcnt lgkmcnt(0)
	s_barrier
	buffer_gl0_inv
	s_and_saveexec_b32 s0, vcc_lo
	s_cbranch_execz .LBB0_13
; %bb.12:
	v_sub_f32_e32 v103, v34, v57
	v_add_f32_e32 v143, v58, v35
	v_sub_f32_e32 v100, v44, v2
	v_add_f32_e32 v142, v3, v45
	v_sub_f32_e32 v98, v46, v0
	v_mul_f32_e32 v75, 0xbf06c442, v103
	v_add_f32_e32 v141, v1, v47
	v_mul_f32_e32 v76, 0x3f65296c, v100
	v_sub_f32_e32 v99, v40, v6
	v_mul_f32_e32 v77, 0xbf7ee86f, v98
	v_fmamk_f32 v73, v143, 0xbf59a7d5, v75
	v_add_f32_e32 v88, v7, v41
	v_fmamk_f32 v74, v142, 0x3ee437d1, v76
	v_sub_f32_e32 v101, v42, v4
	v_mul_f32_e32 v78, 0x3f4c4adb, v99
	v_add_f32_e32 v73, v33, v73
	v_fmamk_f32 v79, v141, 0x3dbcf732, v77
	v_sub_f32_e32 v87, v35, v58
	v_add_f32_e32 v140, v5, v43
	v_sub_f32_e32 v102, v52, v38
	v_add_f32_e32 v73, v74, v73
	v_add_f32_e32 v105, v57, v34
	v_mul_f32_e32 v80, 0xbeb8f4ab, v101
	v_fmamk_f32 v74, v88, 0xbf1a4643, v78
	v_sub_f32_e32 v114, v45, v3
	v_add_f32_e32 v73, v79, v73
	v_mul_f32_e32 v81, 0xbf06c442, v87
	v_add_f32_e32 v116, v39, v53
	v_mul_f32_e32 v79, 0xbe3c28d5, v102
	v_fmamk_f32 v82, v140, 0x3f6eb680, v80
	v_add_f32_e32 v73, v74, v73
	v_add_f32_e32 v107, v2, v44
	v_mul_f32_e32 v83, 0x3f65296c, v114
	v_fma_f32 v84, 0xbf59a7d5, v105, -v81
	v_sub_f32_e32 v119, v47, v1
	v_fmamk_f32 v74, v116, 0xbf7ba420, v79
	v_add_f32_e32 v73, v82, v73
	v_sub_f32_e32 v104, v54, v36
	v_fma_f32 v82, 0x3ee437d1, v107, -v83
	v_add_f32_e32 v84, v32, v84
	v_add_f32_e32 v108, v0, v46
	v_mul_f32_e32 v85, 0xbf7ee86f, v119
	v_sub_f32_e32 v123, v41, v7
	v_add_f32_e32 v73, v74, v73
	v_mul_f32_e32 v86, 0x3f2c7751, v104
	v_add_f32_e32 v136, v37, v55
	v_add_f32_e32 v74, v82, v84
	v_fma_f32 v82, 0x3dbcf732, v108, -v85
	v_add_f32_e32 v109, v6, v40
	v_mul_f32_e32 v84, 0x3f4c4adb, v123
	v_sub_f32_e32 v126, v43, v5
	v_fmamk_f32 v111, v136, 0x3f3d2fb0, v86
	v_add_f32_e32 v74, v82, v74
	v_add_f32_e32 v110, v4, v42
	v_fma_f32 v82, 0xbf1a4643, v109, -v84
	v_mul_f32_e32 v145, 0xbeb8f4ab, v126
	v_sub_f32_e32 v131, v53, v39
	v_sub_f32_e32 v106, v48, v50
	v_add_f32_e32 v73, v111, v73
	v_add_f32_e32 v74, v82, v74
	v_fma_f32 v82, 0x3f6eb680, v110, -v145
	v_add_f32_e32 v111, v38, v52
	v_mul_f32_e32 v147, 0xbe3c28d5, v131
	v_sub_f32_e32 v120, v55, v37
	v_mul_f32_e32 v127, 0xbf7ba420, v143
	v_mul_f32_e32 v146, 0xbf763a35, v106
	v_add_f32_e32 v138, v51, v49
	v_add_f32_e32 v74, v82, v74
	v_fma_f32 v82, 0xbf7ba420, v111, -v147
	v_add_f32_e32 v112, v36, v54
	v_mul_f32_e32 v148, 0x3f2c7751, v120
	v_fmamk_f32 v113, v103, 0x3e3c28d5, v127
	v_mul_f32_e32 v128, 0x3f6eb680, v142
	v_fmamk_f32 v115, v138, 0xbe8c1d8e, v146
	v_add_f32_e32 v82, v82, v74
	v_fma_f32 v117, 0x3f3d2fb0, v112, -v148
	v_add_f32_e32 v113, v33, v113
	v_fmamk_f32 v118, v100, 0xbeb8f4ab, v128
	v_mul_f32_e32 v129, 0xbf59a7d5, v141
	v_add_f32_e32 v74, v115, v73
	v_add_f32_e32 v73, v117, v82
	v_mul_f32_e32 v115, 0x3f3d2fb0, v88
	v_add_f32_e32 v82, v118, v113
	v_fmamk_f32 v117, v98, 0x3f06c442, v129
	v_mul_f32_e32 v132, 0xbe3c28d5, v87
	v_sub_f32_e32 v139, v49, v51
	v_mul_f32_e32 v130, 0xbf1a4643, v140
	v_mul_f32_e32 v133, 0x3eb8f4ab, v114
	v_add_f32_e32 v82, v117, v82
	v_fmamk_f32 v117, v99, 0xbf2c7751, v115
	v_fmamk_f32 v118, v105, 0xbf7ba420, v132
	v_add_f32_e32 v113, v50, v48
	v_mul_f32_e32 v149, 0xbf763a35, v139
	v_fmamk_f32 v121, v101, 0x3f4c4adb, v130
	v_add_f32_e32 v82, v117, v82
	v_mul_f32_e32 v117, 0x3ee437d1, v116
	v_add_f32_e32 v118, v32, v118
	v_fmamk_f32 v122, v107, 0x3f6eb680, v133
	v_mul_f32_e32 v137, 0xbf06c442, v119
	v_fma_f32 v125, 0xbe8c1d8e, v113, -v149
	v_add_f32_e32 v82, v121, v82
	v_fmamk_f32 v121, v102, 0xbf65296c, v117
	v_add_f32_e32 v118, v122, v118
	v_fmamk_f32 v134, v108, 0xbf59a7d5, v137
	v_mul_f32_e32 v124, 0x3f2c7751, v123
	v_fma_f32 v75, 0xbf59a7d5, v143, -v75
	v_add_f32_e32 v73, v125, v73
	v_mul_f32_e32 v122, 0xbe8c1d8e, v136
	v_add_f32_e32 v82, v121, v82
	v_add_f32_e32 v118, v134, v118
	v_fmamk_f32 v121, v109, 0x3f3d2fb0, v124
	v_mul_f32_e32 v125, 0xbf4c4adb, v126
	v_add_f32_e32 v75, v33, v75
	v_fma_f32 v76, 0x3ee437d1, v142, -v76
	v_fmamk_f32 v134, v104, 0x3f763a35, v122
	v_mul_f32_e32 v135, 0x3dbcf732, v138
	v_add_f32_e32 v121, v121, v118
	v_fmamk_f32 v144, v110, 0xbf1a4643, v125
	v_mul_f32_e32 v118, 0x3f65296c, v131
	v_add_f32_e32 v75, v76, v75
	v_fma_f32 v77, 0x3dbcf732, v141, -v77
	v_add_f32_e32 v82, v134, v82
	v_fmamk_f32 v134, v106, 0xbf7ee86f, v135
	v_add_f32_e32 v144, v144, v121
	v_fmamk_f32 v150, v111, 0x3ee437d1, v118
	v_mul_f32_e32 v121, 0xbf763a35, v120
	v_fmac_f32_e32 v81, 0xbf59a7d5, v105
	v_add_f32_e32 v75, v77, v75
	v_fma_f32 v77, 0xbf1a4643, v88, -v78
	v_add_f32_e32 v76, v134, v82
	v_add_f32_e32 v82, v150, v144
	v_fmamk_f32 v78, v112, 0xbe8c1d8e, v121
	v_mul_f32_e32 v134, 0x3f7ee86f, v139
	v_add_f32_e32 v81, v32, v81
	v_fmac_f32_e32 v83, 0x3ee437d1, v107
	v_add_f32_e32 v75, v77, v75
	v_fma_f32 v77, 0x3f6eb680, v140, -v80
	v_add_f32_e32 v78, v78, v82
	v_fmamk_f32 v80, v113, 0x3dbcf732, v134
	v_add_f32_e32 v81, v83, v81
	v_fmac_f32_e32 v85, 0x3dbcf732, v108
	v_add_f32_e32 v77, v77, v75
	v_fma_f32 v79, 0xbf7ba420, v116, -v79
	v_mul_f32_e32 v151, 0xbf1a4643, v143
	v_add_f32_e32 v75, v80, v78
	v_add_f32_e32 v78, v85, v81
	v_fmac_f32_e32 v84, 0xbf1a4643, v109
	v_add_f32_e32 v77, v79, v77
	v_fmamk_f32 v79, v103, 0x3f4c4adb, v151
	v_mul_f32_e32 v152, 0xbe8c1d8e, v142
	v_fma_f32 v80, 0x3f3d2fb0, v136, -v86
	v_add_f32_e32 v78, v84, v78
	v_fmac_f32_e32 v145, 0x3f6eb680, v110
	v_add_f32_e32 v79, v33, v79
	v_fmamk_f32 v81, v100, 0xbf763a35, v152
	v_mul_f32_e32 v144, 0x3f6eb680, v141
	v_add_f32_e32 v77, v80, v77
	v_add_f32_e32 v78, v145, v78
	v_mul_f32_e32 v145, 0xbf59a7d5, v88
	v_add_f32_e32 v79, v81, v79
	v_fmamk_f32 v80, v98, 0x3eb8f4ab, v144
	v_fmac_f32_e32 v147, 0xbf7ba420, v111
	v_fma_f32 v81, 0xbe8c1d8e, v138, -v146
	v_mul_f32_e32 v146, 0x3dbcf732, v140
	v_mul_f32_e32 v161, 0xbf4c4adb, v87
	v_add_f32_e32 v79, v80, v79
	v_fmamk_f32 v80, v99, 0x3f06c442, v145
	v_add_f32_e32 v82, v147, v78
	v_fmac_f32_e32 v148, 0x3f3d2fb0, v112
	v_add_f32_e32 v78, v81, v77
	v_mul_f32_e32 v147, 0x3f3d2fb0, v116
	v_add_f32_e32 v79, v80, v79
	v_fmamk_f32 v80, v101, 0xbf7ee86f, v146
	v_fmamk_f32 v81, v105, 0xbf1a4643, v161
	v_mul_f32_e32 v162, 0x3f763a35, v114
	v_add_f32_e32 v77, v148, v82
	v_mul_f32_e32 v148, 0xbf7ba420, v136
	v_add_f32_e32 v79, v80, v79
	v_fmamk_f32 v80, v102, 0x3f2c7751, v147
	v_add_f32_e32 v81, v32, v81
	v_fmamk_f32 v82, v107, 0xbe8c1d8e, v162
	v_mul_f32_e32 v163, 0xbeb8f4ab, v119
	v_mul_f32_e32 v164, 0xbf06c442, v123
	v_add_f32_e32 v79, v80, v79
	v_fmamk_f32 v80, v104, 0x3e3c28d5, v148
	v_add_f32_e32 v81, v82, v81
	v_fmamk_f32 v82, v108, 0x3f6eb680, v163
	v_mul_f32_e32 v165, 0xbe8c1d8e, v143
	v_mul_f32_e32 v168, 0x3f7ee86f, v126
	v_add_f32_e32 v79, v80, v79
	v_mul_f32_e32 v166, 0xbf59a7d5, v142
	v_add_f32_e32 v80, v82, v81
	v_fmamk_f32 v81, v109, 0xbf59a7d5, v164
	v_fmamk_f32 v83, v103, 0x3f763a35, v165
	v_mul_f32_e32 v150, 0x3ee437d1, v138
	v_mul_f32_e32 v169, 0xbf2c7751, v131
	v_fmamk_f32 v84, v100, 0xbf06c442, v166
	v_add_f32_e32 v80, v81, v80
	v_fmamk_f32 v81, v110, 0x3dbcf732, v168
	v_add_f32_e32 v83, v33, v83
	v_mul_f32_e32 v153, 0x3f3d2fb0, v141
	v_fmac_f32_e32 v149, 0xbe8c1d8e, v113
	v_fmamk_f32 v82, v106, 0xbf65296c, v150
	v_add_f32_e32 v80, v81, v80
	v_fmamk_f32 v81, v111, 0x3f3d2fb0, v169
	v_add_f32_e32 v83, v84, v83
	v_fmamk_f32 v84, v98, 0xbf2c7751, v153
	v_mul_f32_e32 v156, 0x3ee437d1, v88
	v_add_f32_e32 v77, v149, v77
	v_mul_f32_e32 v157, 0xbe3c28d5, v120
	v_add_f32_e32 v81, v81, v80
	v_add_f32_e32 v80, v82, v79
	v_add_f32_e32 v79, v84, v83
	v_fmamk_f32 v82, v99, 0x3f65296c, v156
	v_mul_f32_e32 v149, 0xbf7ba420, v140
	v_mul_f32_e32 v182, 0xbf763a35, v87
	v_fmamk_f32 v85, v112, 0xbf7ba420, v157
	v_mul_f32_e32 v159, 0x3f65296c, v139
	v_add_f32_e32 v79, v82, v79
	v_fmamk_f32 v82, v101, 0x3e3c28d5, v149
	v_mul_f32_e32 v154, 0x3dbcf732, v116
	v_fmamk_f32 v84, v105, 0xbe8c1d8e, v182
	v_mul_f32_e32 v184, 0x3f06c442, v114
	v_add_f32_e32 v81, v85, v81
	v_fmamk_f32 v83, v113, 0x3ee437d1, v159
	v_add_f32_e32 v79, v82, v79
	v_fmamk_f32 v82, v102, 0xbf7ee86f, v154
	;; [unrolled: 2-line block ×3, first 2 shown]
	v_mul_f32_e32 v185, 0x3f2c7751, v119
	v_mul_f32_e32 v155, 0x3f6eb680, v136
	v_add_f32_e32 v82, v82, v79
	v_add_f32_e32 v79, v83, v81
	;; [unrolled: 1-line block ×3, first 2 shown]
	v_fmamk_f32 v83, v108, 0x3f3d2fb0, v185
	v_mul_f32_e32 v170, 0xbf65296c, v123
	v_mul_f32_e32 v190, 0x3dbcf732, v143
	v_fmamk_f32 v86, v104, 0x3eb8f4ab, v155
	v_mul_f32_e32 v186, 0xbe3c28d5, v126
	v_add_f32_e32 v81, v83, v81
	v_fmamk_f32 v83, v109, 0x3ee437d1, v170
	v_fmamk_f32 v85, v103, 0x3f7ee86f, v190
	v_mul_f32_e32 v191, 0xbf7ba420, v142
	v_add_f32_e32 v82, v86, v82
	v_mul_f32_e32 v158, 0xbf1a4643, v138
	v_add_f32_e32 v81, v83, v81
	v_fmamk_f32 v83, v110, 0xbf7ba420, v186
	v_mul_f32_e32 v187, 0x3f7ee86f, v131
	v_add_f32_e32 v85, v33, v85
	v_fmamk_f32 v86, v100, 0x3e3c28d5, v191
	v_mul_f32_e32 v192, 0xbe8c1d8e, v141
	v_fmamk_f32 v84, v106, 0x3f4c4adb, v158
	v_add_f32_e32 v81, v83, v81
	v_fmamk_f32 v83, v111, 0x3dbcf732, v187
	v_mul_f32_e32 v171, 0xbeb8f4ab, v120
	v_add_f32_e32 v85, v86, v85
	v_fmamk_f32 v86, v98, 0xbf763a35, v192
	v_mul_f32_e32 v174, 0x3f6eb680, v88
	v_add_f32_e32 v81, v83, v81
	v_fmamk_f32 v83, v112, 0x3f6eb680, v171
	v_add_f32_e32 v82, v84, v82
	v_add_f32_e32 v84, v86, v85
	v_fmamk_f32 v85, v99, 0xbeb8f4ab, v174
	v_mul_f32_e32 v177, 0x3ee437d1, v140
	v_mul_f32_e32 v196, 0xbf7ee86f, v87
	v_add_f32_e32 v81, v83, v81
	v_mul_f32_e32 v180, 0xbf4c4adb, v139
	v_add_f32_e32 v83, v85, v84
	v_fmamk_f32 v84, v101, 0x3f65296c, v177
	v_mul_f32_e32 v175, 0xbf59a7d5, v116
	v_fmamk_f32 v86, v105, 0x3dbcf732, v196
	v_mul_f32_e32 v198, 0xbe3c28d5, v114
	v_fmamk_f32 v85, v113, 0xbf1a4643, v180
	v_add_f32_e32 v83, v84, v83
	v_fmamk_f32 v84, v102, 0x3f06c442, v175
	v_mul_f32_e32 v176, 0xbf1a4643, v136
	v_add_f32_e32 v86, v32, v86
	v_fmamk_f32 v160, v107, 0xbf7ba420, v198
	v_mul_f32_e32 v199, 0x3f763a35, v119
	v_add_f32_e32 v83, v84, v83
	v_fmamk_f32 v84, v104, 0xbf4c4adb, v176
	v_add_f32_e32 v81, v85, v81
	v_add_f32_e32 v85, v160, v86
	v_fmamk_f32 v86, v108, 0xbe8c1d8e, v199
	v_mul_f32_e32 v193, 0x3eb8f4ab, v123
	v_mul_f32_e32 v201, 0x3ee437d1, v143
	v_add_f32_e32 v83, v84, v83
	v_mul_f32_e32 v200, 0xbf65296c, v126
	v_add_f32_e32 v84, v86, v85
	v_fmamk_f32 v85, v109, 0x3f6eb680, v193
	v_fmamk_f32 v160, v103, 0x3f65296c, v201
	v_mul_f32_e32 v202, 0xbf1a4643, v142
	v_mul_f32_e32 v183, 0x3f3d2fb0, v138
	;; [unrolled: 1-line block ×3, first 2 shown]
	v_add_f32_e32 v84, v85, v84
	v_fmamk_f32 v85, v110, 0x3ee437d1, v200
	v_add_f32_e32 v160, v33, v160
	v_fmamk_f32 v167, v100, 0x3f4c4adb, v202
	v_mul_f32_e32 v194, 0xbf7ba420, v141
	v_fmamk_f32 v86, v106, 0xbf2c7751, v183
	v_add_f32_e32 v84, v85, v84
	v_fmamk_f32 v85, v111, 0xbf59a7d5, v188
	v_mul_f32_e32 v189, 0x3f4c4adb, v120
	v_add_f32_e32 v160, v167, v160
	v_fmamk_f32 v167, v98, 0xbe3c28d5, v194
	v_mul_f32_e32 v178, 0xbe8c1d8e, v88
	v_add_f32_e32 v85, v85, v84
	v_fmamk_f32 v172, v112, 0xbf1a4643, v189
	v_add_f32_e32 v84, v86, v83
	v_add_f32_e32 v83, v167, v160
	v_fmamk_f32 v86, v99, 0xbf763a35, v178
	v_mul_f32_e32 v173, 0x3f3d2fb0, v140
	v_mul_f32_e32 v205, 0xbf65296c, v87
	v_add_f32_e32 v85, v172, v85
	v_mul_f32_e32 v167, 0x3f2c7751, v139
	v_add_f32_e32 v83, v86, v83
	v_fmamk_f32 v86, v101, 0xbf2c7751, v173
	v_mul_f32_e32 v181, 0x3f6eb680, v116
	v_fmamk_f32 v172, v105, 0x3ee437d1, v205
	v_mul_f32_e32 v207, 0xbf4c4adb, v114
	v_fmamk_f32 v160, v113, 0x3f3d2fb0, v167
	v_add_f32_e32 v83, v86, v83
	v_fmamk_f32 v86, v102, 0x3eb8f4ab, v181
	v_mul_f32_e32 v179, 0x3dbcf732, v136
	v_add_f32_e32 v172, v32, v172
	v_fmamk_f32 v195, v107, 0xbf1a4643, v207
	v_mul_f32_e32 v203, 0x3e3c28d5, v119
	v_add_f32_e32 v86, v86, v83
	v_fmamk_f32 v197, v104, 0x3f7ee86f, v179
	v_add_f32_e32 v83, v160, v85
	v_add_f32_e32 v85, v195, v172
	v_fmamk_f32 v160, v108, 0xbf7ba420, v203
	v_mul_f32_e32 v204, 0x3f763a35, v123
	v_mul_f32_e32 v216, 0x3f3d2fb0, v143
	v_add_f32_e32 v86, v197, v86
	v_mul_f32_e32 v208, 0x3f2c7751, v126
	v_add_f32_e32 v85, v160, v85
	v_fmamk_f32 v160, v109, 0xbe8c1d8e, v204
	v_fmamk_f32 v197, v103, 0x3f2c7751, v216
	v_mul_f32_e32 v217, 0x3dbcf732, v142
	v_mul_f32_e32 v172, 0xbf59a7d5, v138
	;; [unrolled: 1-line block ×3, first 2 shown]
	v_add_f32_e32 v85, v160, v85
	v_fmamk_f32 v160, v110, 0x3f3d2fb0, v208
	v_add_f32_e32 v197, v33, v197
	v_fmamk_f32 v206, v100, 0x3f7ee86f, v217
	v_mul_f32_e32 v218, 0xbf1a4643, v141
	v_add_f32_e32 v35, v35, v33
	v_fmamk_f32 v195, v106, 0x3f06c442, v172
	v_add_f32_e32 v85, v160, v85
	v_fmamk_f32 v160, v111, 0x3f6eb680, v209
	v_mul_f32_e32 v210, 0xbf7ee86f, v120
	v_add_f32_e32 v197, v206, v197
	v_fmamk_f32 v206, v98, 0x3f4c4adb, v218
	v_mul_f32_e32 v219, 0xbf7ba420, v88
	v_add_f32_e32 v35, v45, v35
	v_add_f32_e32 v34, v34, v32
	;; [unrolled: 1-line block ×3, first 2 shown]
	v_fmamk_f32 v160, v112, 0x3dbcf732, v210
	v_add_f32_e32 v86, v195, v86
	v_add_f32_e32 v195, v206, v197
	v_fmamk_f32 v197, v99, 0x3e3c28d5, v219
	v_mul_f32_e32 v220, 0xbf59a7d5, v140
	v_mul_f32_e32 v221, 0xbf2c7751, v87
	v_add_f32_e32 v35, v47, v35
	v_add_f32_e32 v34, v44, v34
	;; [unrolled: 1-line block ×3, first 2 shown]
	v_mul_f32_e32 v215, 0xbf06c442, v139
	v_add_f32_e32 v160, v197, v195
	v_fmamk_f32 v195, v101, 0xbf06c442, v220
	v_mul_f32_e32 v223, 0xbe8c1d8e, v116
	v_fmamk_f32 v206, v105, 0x3f3d2fb0, v221
	v_mul_f32_e32 v222, 0xbf7ee86f, v114
	v_add_f32_e32 v35, v41, v35
	v_add_f32_e32 v34, v46, v34
	v_fmamk_f32 v197, v113, 0xbf59a7d5, v215
	v_add_f32_e32 v160, v195, v160
	v_fmamk_f32 v211, v102, 0xbf763a35, v223
	v_mul_f32_e32 v224, 0x3ee437d1, v136
	v_add_f32_e32 v206, v32, v206
	v_fmamk_f32 v212, v107, 0x3dbcf732, v222
	v_mul_f32_e32 v195, 0xbf4c4adb, v119
	v_add_f32_e32 v35, v43, v35
	v_add_f32_e32 v34, v40, v34
	;; [unrolled: 1-line block ×3, first 2 shown]
	v_fmamk_f32 v211, v104, 0xbf65296c, v224
	v_add_f32_e32 v85, v197, v85
	v_add_f32_e32 v212, v212, v206
	v_fmamk_f32 v213, v108, 0xbf1a4643, v195
	v_mul_f32_e32 v197, 0xbe3c28d5, v123
	v_mul_f32_e32 v206, 0x3f6eb680, v143
	v_add_f32_e32 v35, v53, v35
	v_add_f32_e32 v34, v42, v34
	;; [unrolled: 1-line block ×4, first 2 shown]
	v_fmamk_f32 v213, v109, 0xbf7ba420, v197
	v_mul_f32_e32 v143, 0x3f06c442, v126
	v_fmamk_f32 v226, v103, 0x3eb8f4ab, v206
	v_mul_f32_e32 v211, 0x3f3d2fb0, v142
	v_add_f32_e32 v35, v55, v35
	v_add_f32_e32 v34, v52, v34
	v_mul_f32_e32 v160, 0x3f6eb680, v138
	v_add_f32_e32 v213, v213, v212
	v_fmamk_f32 v227, v110, 0xbf59a7d5, v143
	v_add_f32_e32 v226, v33, v226
	v_fmamk_f32 v228, v100, 0x3f2c7751, v211
	v_mul_f32_e32 v212, 0x3ee437d1, v141
	v_add_f32_e32 v35, v49, v35
	v_add_f32_e32 v34, v54, v34
	v_fmamk_f32 v225, v106, 0xbeb8f4ab, v160
	v_add_f32_e32 v227, v227, v213
	v_add_f32_e32 v226, v228, v226
	v_fmamk_f32 v228, v98, 0x3f65296c, v212
	v_mul_f32_e32 v213, 0x3dbcf732, v88
	v_add_f32_e32 v35, v51, v35
	v_add_f32_e32 v34, v48, v34
	;; [unrolled: 1-line block ×4, first 2 shown]
	v_fmamk_f32 v226, v99, 0x3f7ee86f, v213
	v_mul_f32_e32 v214, 0xbe8c1d8e, v140
	v_add_f32_e32 v37, v37, v35
	v_add_f32_e32 v34, v50, v34
	v_mul_f32_e32 v116, 0xbf1a4643, v116
	v_add_f32_e32 v225, v226, v225
	v_fmamk_f32 v226, v101, 0x3f763a35, v214
	v_add_f32_e32 v37, v39, v37
	v_add_f32_e32 v34, v36, v34
	v_fmac_f32_e32 v127, 0xbe3c28d5, v103
	v_fmac_f32_e32 v128, 0x3eb8f4ab, v100
	v_add_f32_e32 v45, v226, v225
	v_fmamk_f32 v225, v102, 0x3f4c4adb, v116
	v_mul_f32_e32 v226, 0xbeb8f4ab, v87
	v_add_f32_e32 v5, v5, v37
	v_add_f32_e32 v34, v38, v34
	;; [unrolled: 1-line block ×4, first 2 shown]
	v_fmamk_f32 v45, v105, 0x3f6eb680, v226
	v_mul_f32_e32 v41, 0xbf2c7751, v114
	v_add_f32_e32 v5, v7, v5
	v_add_f32_e32 v4, v4, v34
	;; [unrolled: 1-line block ×3, first 2 shown]
	v_fmac_f32_e32 v129, 0xbf06c442, v98
	v_mul_f32_e32 v46, 0xbf59a7d5, v136
	v_add_f32_e32 v45, v32, v45
	v_fmamk_f32 v40, v107, 0x3f3d2fb0, v41
	v_mul_f32_e32 v43, 0xbf65296c, v119
	v_add_f32_e32 v1, v1, v5
	v_add_f32_e32 v4, v6, v4
	;; [unrolled: 1-line block ×3, first 2 shown]
	v_fmac_f32_e32 v115, 0x3f2c7751, v99
	v_fma_f32 v6, 0xbf7ba420, v105, -v132
	v_fmamk_f32 v47, v104, 0x3f06c442, v46
	v_add_f32_e32 v40, v40, v45
	v_fmamk_f32 v42, v108, 0x3ee437d1, v43
	v_mul_f32_e32 v45, 0xbf7ee86f, v123
	v_add_f32_e32 v1, v3, v1
	v_add_f32_e32 v0, v0, v4
	;; [unrolled: 1-line block ×3, first 2 shown]
	v_fmac_f32_e32 v130, 0xbf4c4adb, v101
	v_add_f32_e32 v4, v32, v6
	v_fma_f32 v5, 0x3f6eb680, v107, -v133
	v_add_f32_e32 v44, v47, v44
	v_add_f32_e32 v40, v42, v40
	v_fmamk_f32 v42, v109, 0x3dbcf732, v45
	v_mul_f32_e32 v47, 0xbf763a35, v126
	v_add_f32_e32 v0, v2, v0
	v_add_f32_e32 v2, v130, v3
	v_fmac_f32_e32 v117, 0x3f65296c, v102
	v_add_f32_e32 v3, v5, v4
	v_fma_f32 v4, 0xbf59a7d5, v108, -v137
	v_fmac_f32_e32 v151, 0xbf4c4adb, v103
	v_add_f32_e32 v40, v42, v40
	v_fmamk_f32 v42, v110, 0xbe8c1d8e, v47
	v_mul_f32_e32 v48, 0xbf4c4adb, v131
	v_add_f32_e32 v2, v117, v2
	v_fmac_f32_e32 v122, 0xbf763a35, v104
	v_add_f32_e32 v3, v4, v3
	v_fma_f32 v4, 0x3f3d2fb0, v109, -v124
	v_add_f32_e32 v5, v33, v151
	v_fmac_f32_e32 v152, 0x3f763a35, v100
	v_add_f32_e32 v40, v42, v40
	v_fmamk_f32 v42, v111, 0xbf1a4643, v48
	v_add_f32_e32 v2, v122, v2
	v_fmac_f32_e32 v135, 0x3f7ee86f, v106
	v_add_f32_e32 v4, v4, v3
	v_fma_f32 v6, 0xbf1a4643, v110, -v125
	v_add_f32_e32 v5, v152, v5
	v_fmac_f32_e32 v144, 0xbeb8f4ab, v98
	v_add_f32_e32 v36, v42, v40
	v_mul_f32_e32 v40, 0xbf06c442, v120
	v_add_f32_e32 v3, v135, v2
	v_fma_f32 v2, 0xbf1a4643, v105, -v161
	v_add_f32_e32 v4, v6, v4
	v_fma_f32 v6, 0x3ee437d1, v111, -v118
	v_add_f32_e32 v5, v144, v5
	v_fmac_f32_e32 v145, 0xbf06c442, v99
	v_fmamk_f32 v38, v112, 0xbf59a7d5, v40
	v_mul_f32_e32 v42, 0xbe3c28d5, v139
	v_add_f32_e32 v2, v32, v2
	v_fma_f32 v7, 0xbe8c1d8e, v107, -v162
	v_add_f32_e32 v4, v6, v4
	v_fma_f32 v6, 0xbe8c1d8e, v112, -v121
	v_add_f32_e32 v5, v145, v5
	v_fmac_f32_e32 v146, 0x3f7ee86f, v101
	v_add_f32_e32 v34, v38, v36
	v_fmamk_f32 v36, v113, 0xbf7ba420, v42
	v_add_f32_e32 v2, v7, v2
	v_fma_f32 v7, 0x3f6eb680, v108, -v163
	v_add_f32_e32 v4, v6, v4
	v_fma_f32 v6, 0x3dbcf732, v113, -v134
	v_add_f32_e32 v5, v146, v5
	v_fmac_f32_e32 v147, 0xbf2c7751, v102
	v_add_f32_e32 v34, v36, v34
	v_add_f32_e32 v7, v7, v2
	v_fma_f32 v36, 0xbf59a7d5, v109, -v164
	v_add_f32_e32 v2, v6, v4
	v_fmac_f32_e32 v165, 0xbf763a35, v103
	v_add_f32_e32 v4, v147, v5
	v_fmac_f32_e32 v148, 0xbe3c28d5, v104
	v_add_f32_e32 v5, v36, v7
	v_fma_f32 v6, 0x3dbcf732, v110, -v168
	v_add_f32_e32 v7, v33, v165
	v_fmac_f32_e32 v166, 0x3f06c442, v100
	v_add_f32_e32 v4, v148, v4
	v_fmac_f32_e32 v150, 0x3f65296c, v106
	v_add_f32_e32 v6, v6, v5
	v_fma_f32 v36, 0x3f3d2fb0, v111, -v169
	v_add_f32_e32 v7, v166, v7
	v_fmac_f32_e32 v153, 0x3f2c7751, v98
	v_add_f32_e32 v5, v150, v4
	v_fma_f32 v4, 0xbe8c1d8e, v105, -v182
	v_add_f32_e32 v6, v36, v6
	v_fma_f32 v36, 0xbf7ba420, v112, -v157
	v_add_f32_e32 v7, v153, v7
	v_fmac_f32_e32 v156, 0xbf65296c, v99
	v_add_f32_e32 v4, v32, v4
	v_fma_f32 v37, 0xbf59a7d5, v107, -v184
	;; [unrolled: 6-line block ×3, first 2 shown]
	v_fmac_f32_e32 v190, 0xbf7ee86f, v103
	v_add_f32_e32 v4, v36, v6
	v_add_f32_e32 v6, v149, v7
	v_fmac_f32_e32 v154, 0x3f7ee86f, v102
	v_add_f32_e32 v7, v38, v37
	v_fma_f32 v36, 0x3ee437d1, v109, -v170
	v_add_f32_e32 v37, v33, v190
	v_fmac_f32_e32 v191, 0xbe3c28d5, v100
	v_add_f32_e32 v6, v154, v6
	v_fmac_f32_e32 v155, 0xbeb8f4ab, v104
	v_add_f32_e32 v7, v36, v7
	v_fma_f32 v36, 0xbf7ba420, v110, -v186
	v_add_f32_e32 v37, v191, v37
	v_fmac_f32_e32 v192, 0x3f763a35, v98
	;; [unrolled: 6-line block ×3, first 2 shown]
	v_mul_f32_e32 v49, 0xbf7ba420, v138
	v_add_f32_e32 v7, v158, v6
	v_fma_f32 v6, 0x3dbcf732, v105, -v196
	v_add_f32_e32 v36, v38, v36
	v_fma_f32 v38, 0x3f6eb680, v112, -v171
	v_add_f32_e32 v37, v174, v37
	v_fmac_f32_e32 v177, 0xbf65296c, v101
	v_fmamk_f32 v51, v106, 0x3e3c28d5, v49
	v_add_f32_e32 v6, v32, v6
	v_fma_f32 v39, 0xbf7ba420, v107, -v198
	v_add_f32_e32 v36, v38, v36
	v_fma_f32 v38, 0xbf1a4643, v113, -v180
	v_add_f32_e32 v37, v177, v37
	v_fmac_f32_e32 v175, 0xbf06c442, v102
	v_add_f32_e32 v35, v51, v44
	v_add_f32_e32 v39, v39, v6
	v_fma_f32 v44, 0xbe8c1d8e, v108, -v199
	v_add_f32_e32 v6, v38, v36
	v_add_f32_e32 v36, v175, v37
	v_fmac_f32_e32 v176, 0x3f4c4adb, v104
	v_fma_f32 v38, 0x3f6eb680, v109, -v193
	v_add_f32_e32 v37, v44, v39
	v_fmac_f32_e32 v183, 0x3f2c7751, v106
	v_fma_f32 v44, 0x3ee437d1, v110, -v200
	v_add_f32_e32 v36, v176, v36
	v_fma_f32 v50, 0xbf1a4643, v107, -v207
	v_add_f32_e32 v38, v38, v37
	v_fmac_f32_e32 v216, 0xbf2c7751, v103
	v_fmac_f32_e32 v217, 0xbf7ee86f, v100
	v_add_f32_e32 v37, v183, v36
	v_fma_f32 v36, 0x3ee437d1, v105, -v205
	v_add_f32_e32 v38, v44, v38
	v_fma_f32 v44, 0xbf59a7d5, v111, -v188
	;; [unrolled: 2-line block ×3, first 2 shown]
	v_add_f32_e32 v36, v32, v36
	v_fmac_f32_e32 v201, 0xbf65296c, v103
	v_add_f32_e32 v38, v44, v38
	v_fma_f32 v44, 0xbf1a4643, v112, -v189
	v_fmac_f32_e32 v206, 0xbeb8f4ab, v103
	v_add_f32_e32 v36, v50, v36
	v_fma_f32 v50, 0xbf7ba420, v108, -v203
	v_add_f32_e32 v39, v33, v201
	v_add_f32_e32 v38, v44, v38
	v_fma_f32 v44, 0xbe8c1d8e, v109, -v204
	v_fmac_f32_e32 v202, 0xbf4c4adb, v100
	v_add_f32_e32 v36, v50, v36
	v_add_f32_e32 v50, v217, v51
	v_fma_f32 v51, 0x3f3d2fb0, v113, -v167
	v_add_f32_e32 v33, v33, v206
	v_fmac_f32_e32 v211, 0xbf2c7751, v100
	v_add_f32_e32 v36, v44, v36
	v_fma_f32 v44, 0x3f3d2fb0, v110, -v208
	v_fma_f32 v41, 0x3f3d2fb0, v107, -v41
	v_add_f32_e32 v39, v202, v39
	v_fmac_f32_e32 v194, 0x3e3c28d5, v98
	v_fmac_f32_e32 v218, 0xbf4c4adb, v98
	v_add_f32_e32 v44, v44, v36
	v_add_f32_e32 v36, v51, v38
	v_fma_f32 v51, 0x3f3d2fb0, v105, -v221
	v_add_f32_e32 v33, v211, v33
	v_fmac_f32_e32 v212, 0xbf65296c, v98
	v_add_f32_e32 v38, v52, v44
	v_fma_f32 v44, 0x3dbcf732, v112, -v210
	v_fma_f32 v52, 0x3f6eb680, v105, -v226
	v_add_f32_e32 v39, v194, v39
	v_fmac_f32_e32 v178, 0x3f763a35, v99
	v_add_f32_e32 v50, v218, v50
	v_add_f32_e32 v38, v44, v38
	v_fma_f32 v44, 0xbf59a7d5, v113, -v215
	v_fmac_f32_e32 v219, 0xbe3c28d5, v99
	v_add_f32_e32 v33, v212, v33
	v_fmac_f32_e32 v213, 0xbf7ee86f, v99
	v_mul_f32_e32 v142, 0x3f763a35, v131
	v_add_f32_e32 v38, v44, v38
	v_add_f32_e32 v44, v32, v51
	v_fma_f32 v51, 0x3dbcf732, v107, -v222
	v_add_f32_e32 v32, v32, v52
	v_add_f32_e32 v39, v178, v39
	v_fmac_f32_e32 v173, 0x3f2c7751, v101
	v_add_f32_e32 v50, v219, v50
	v_add_f32_e32 v44, v51, v44
	v_fma_f32 v51, 0xbf1a4643, v108, -v195
	v_add_f32_e32 v32, v41, v32
	v_fma_f32 v41, 0x3ee437d1, v108, -v43
	v_fmac_f32_e32 v220, 0x3f06c442, v101
	v_add_f32_e32 v33, v213, v33
	v_add_f32_e32 v44, v51, v44
	v_fma_f32 v51, 0xbf7ba420, v109, -v197
	v_add_f32_e32 v32, v41, v32
	v_fma_f32 v41, 0x3dbcf732, v109, -v45
	v_fmac_f32_e32 v214, 0xbf763a35, v101
	v_fmamk_f32 v229, v111, 0xbe8c1d8e, v142
	v_add_f32_e32 v43, v51, v44
	v_fma_f32 v44, 0xbf59a7d5, v110, -v143
	v_add_f32_e32 v32, v41, v32
	v_fma_f32 v41, 0xbe8c1d8e, v110, -v47
	v_mul_f32_e32 v141, 0x3f65296c, v120
	v_add_f32_e32 v39, v173, v39
	v_fmac_f32_e32 v181, 0xbeb8f4ab, v102
	v_add_f32_e32 v50, v220, v50
	v_fmac_f32_e32 v223, 0x3f763a35, v102
	v_add_f32_e32 v43, v44, v43
	v_fma_f32 v44, 0xbe8c1d8e, v111, -v142
	v_add_f32_e32 v33, v214, v33
	v_fmac_f32_e32 v116, 0xbf4c4adb, v102
	v_add_f32_e32 v32, v41, v32
	v_fma_f32 v41, 0xbf1a4643, v111, -v48
	v_add_f32_e32 v227, v229, v227
	v_fmamk_f32 v229, v112, 0x3ee437d1, v141
	v_mul_f32_e32 v140, 0x3eb8f4ab, v139
	v_add_f32_e32 v39, v181, v39
	v_fmac_f32_e32 v179, 0xbf7ee86f, v104
	v_add_f32_e32 v50, v223, v50
	v_fmac_f32_e32 v224, 0x3f65296c, v104
	v_add_f32_e32 v43, v44, v43
	v_fma_f32 v44, 0x3ee437d1, v112, -v141
	v_add_f32_e32 v33, v116, v33
	v_fmac_f32_e32 v46, 0xbf06c442, v104
	v_add_f32_e32 v32, v41, v32
	v_fma_f32 v40, 0xbf59a7d5, v112, -v40
	v_mul_lo_u16 v41, v91, 17
	v_mov_b32_e32 v45, 3
	v_add_f32_e32 v227, v229, v227
	v_fmamk_f32 v228, v113, 0x3f6eb680, v140
	v_add_f32_e32 v1, v58, v1
	v_add_f32_e32 v0, v57, v0
	v_add_f32_e32 v39, v179, v39
	v_fmac_f32_e32 v172, 0xbf06c442, v106
	v_add_f32_e32 v50, v224, v50
	v_fmac_f32_e32 v160, 0x3eb8f4ab, v106
	v_add_f32_e32 v43, v44, v43
	v_fma_f32 v44, 0x3f6eb680, v113, -v140
	v_add_f32_e32 v46, v46, v33
	v_fmac_f32_e32 v49, 0xbe3c28d5, v106
	v_add_f32_e32 v40, v40, v32
	v_fma_f32 v42, 0xbf7ba420, v113, -v42
	v_lshlrev_b32_sdwa v45, v45, v41 dst_sel:DWORD dst_unused:UNUSED_PAD src0_sel:DWORD src1_sel:WORD_0
	v_add_f32_e32 v87, v228, v227
	v_add_f32_e32 v39, v172, v39
	;; [unrolled: 1-line block ×6, first 2 shown]
	ds_write2_b64 v45, v[0:1], v[34:35] offset1:1
	ds_write2_b64 v45, v[87:88], v[85:86] offset0:2 offset1:3
	ds_write2_b64 v45, v[83:84], v[81:82] offset0:4 offset1:5
	;; [unrolled: 1-line block ×7, first 2 shown]
	ds_write_b64 v45, v[40:41] offset:128
.LBB0_13:
	s_or_b32 exec_lo, exec_lo, s0
	s_waitcnt lgkmcnt(0)
	s_barrier
	buffer_gl0_inv
	ds_read2_b64 v[2:5], v92 offset0:204 offset1:255
	v_add_nc_u32_e32 v0, 0x800, v92
	v_add_nc_u32_e32 v1, 0xc00, v92
	ds_read2_b64 v[32:35], v0 offset0:152 offset1:203
	ds_read2_b64 v[36:39], v0 offset0:50 offset1:101
	;; [unrolled: 1-line block ×3, first 2 shown]
	ds_read2_b64 v[44:47], v92 offset1:51
	ds_read2_b64 v[48:51], v92 offset0:102 offset1:153
	s_waitcnt lgkmcnt(0)
	s_barrier
	buffer_gl0_inv
	v_mul_f32_e32 v6, v17, v3
	v_mul_f32_e32 v7, v17, v2
	v_mul_f32_e32 v17, v21, v5
	v_mul_f32_e32 v21, v21, v4
	v_fmac_f32_e32 v6, v16, v2
	v_fma_f32 v3, v16, v3, -v7
	v_mul_f32_e32 v7, v19, v33
	v_mul_f32_e32 v2, v19, v32
	v_fmac_f32_e32 v17, v20, v4
	v_mul_f32_e32 v4, v23, v34
	v_fma_f32 v16, v20, v5, -v21
	v_mul_f32_e32 v19, v23, v35
	v_mul_f32_e32 v20, v13, v37
	;; [unrolled: 1-line block ×3, first 2 shown]
	v_fmac_f32_e32 v7, v18, v32
	v_fma_f32 v13, v18, v33, -v2
	v_fma_f32 v18, v22, v35, -v4
	v_mul_f32_e32 v2, v15, v40
	v_mul_f32_e32 v4, v9, v38
	v_fmac_f32_e32 v19, v22, v34
	v_mul_f32_e32 v22, v9, v39
	v_mul_f32_e32 v21, v15, v41
	v_fma_f32 v23, v14, v41, -v2
	v_mul_f32_e32 v2, v11, v42
	v_fma_f32 v33, v8, v39, -v4
	v_add_f32_e32 v4, v6, v7
	v_fma_f32 v15, v12, v37, -v5
	v_fmac_f32_e32 v22, v8, v38
	v_add_f32_e32 v5, v44, v6
	v_fma_f32 v34, v10, v43, -v2
	v_add_f32_e32 v8, v3, v13
	v_fma_f32 v2, -0.5, v4, v44
	v_sub_f32_e32 v9, v3, v13
	v_mul_f32_e32 v32, v11, v43
	v_add_f32_e32 v4, v5, v7
	v_add_f32_e32 v5, v45, v3
	v_fma_f32 v3, -0.5, v8, v45
	v_sub_f32_e32 v8, v6, v7
	v_fmamk_f32 v6, v9, 0xbf5db3d7, v2
	v_fmac_f32_e32 v2, 0x3f5db3d7, v9
	v_add_f32_e32 v9, v17, v19
	v_add_f32_e32 v11, v16, v18
	v_fmac_f32_e32 v20, v12, v36
	v_fmac_f32_e32 v21, v14, v40
	;; [unrolled: 1-line block ×3, first 2 shown]
	v_add_f32_e32 v5, v5, v13
	v_add_f32_e32 v10, v46, v17
	v_fma_f32 v46, -0.5, v9, v46
	v_sub_f32_e32 v9, v16, v18
	v_add_f32_e32 v12, v47, v16
	v_fmac_f32_e32 v47, -0.5, v11
	v_sub_f32_e32 v13, v17, v19
	v_fmamk_f32 v7, v8, 0x3f5db3d7, v3
	v_fmac_f32_e32 v3, 0xbf5db3d7, v8
	v_add_f32_e32 v8, v10, v19
	v_fmamk_f32 v10, v9, 0xbf5db3d7, v46
	v_fmac_f32_e32 v46, 0x3f5db3d7, v9
	v_add_f32_e32 v9, v12, v18
	v_add_f32_e32 v12, v20, v21
	v_fmamk_f32 v11, v13, 0x3f5db3d7, v47
	v_fmac_f32_e32 v47, 0xbf5db3d7, v13
	v_add_f32_e32 v13, v15, v23
	v_sub_f32_e32 v17, v15, v23
	v_fma_f32 v12, -0.5, v12, v48
	v_sub_f32_e32 v18, v20, v21
	v_add_f32_e32 v14, v48, v20
	v_fma_f32 v13, -0.5, v13, v49
	v_add_f32_e32 v19, v22, v32
	v_fmamk_f32 v16, v17, 0xbf5db3d7, v12
	v_fmac_f32_e32 v12, 0x3f5db3d7, v17
	v_add_f32_e32 v14, v14, v21
	v_fmamk_f32 v17, v18, 0x3f5db3d7, v13
	v_fmac_f32_e32 v13, 0xbf5db3d7, v18
	v_add_f32_e32 v18, v33, v34
	v_add_f32_e32 v15, v49, v15
	;; [unrolled: 1-line block ×3, first 2 shown]
	v_fma_f32 v50, -0.5, v19, v50
	v_sub_f32_e32 v19, v33, v34
	v_add_f32_e32 v21, v51, v33
	v_fmac_f32_e32 v51, -0.5, v18
	v_sub_f32_e32 v22, v22, v32
	v_add_f32_e32 v15, v15, v23
	v_add_f32_e32 v18, v20, v32
	v_fmamk_f32 v20, v19, 0xbf5db3d7, v50
	v_fmac_f32_e32 v50, 0x3f5db3d7, v19
	v_add_f32_e32 v19, v21, v34
	v_fmamk_f32 v21, v22, 0x3f5db3d7, v51
	v_fmac_f32_e32 v51, 0xbf5db3d7, v22
	ds_write2_b64 v97, v[4:5], v[6:7] offset1:17
	ds_write_b64 v97, v[2:3] offset:272
	ds_write2_b64 v96, v[8:9], v[10:11] offset1:17
	ds_write_b64 v96, v[46:47] offset:272
	;; [unrolled: 2-line block ×4, first 2 shown]
	s_waitcnt lgkmcnt(0)
	s_barrier
	buffer_gl0_inv
	ds_read2_b64 v[2:5], v92 offset0:102 offset1:153
	ds_read2_b64 v[6:9], v92 offset0:204 offset1:255
	;; [unrolled: 1-line block ×5, first 2 shown]
	ds_read2_b64 v[32:35], v92 offset1:51
	s_waitcnt lgkmcnt(0)
	s_barrier
	buffer_gl0_inv
	v_mul_f32_e32 v23, v29, v2
	v_mul_f32_e32 v22, v29, v3
	;; [unrolled: 1-line block ×3, first 2 shown]
	v_fma_f32 v3, v28, v3, -v23
	v_mul_f32_e32 v23, v25, v11
	v_fmac_f32_e32 v22, v28, v2
	v_mul_f32_e32 v2, v31, v6
	v_fmac_f32_e32 v36, v30, v6
	;; [unrolled: 2-line block ×3, first 2 shown]
	v_mul_f32_e32 v10, v27, v14
	v_fma_f32 v2, v30, v7, -v2
	v_mul_f32_e32 v7, v27, v15
	v_fma_f32 v6, v24, v11, -v6
	;; [unrolled: 2-line block ×3, first 2 shown]
	v_mul_f32_e32 v15, v29, v5
	v_fmac_f32_e32 v7, v26, v14
	v_mul_f32_e32 v14, v60, v18
	v_fmac_f32_e32 v11, v59, v18
	;; [unrolled: 2-line block ×3, first 2 shown]
	v_mul_f32_e32 v4, v31, v8
	v_mul_f32_e32 v29, v27, v17
	v_fma_f32 v14, v59, v19, -v14
	v_fma_f32 v18, v28, v5, -v18
	v_mul_f32_e32 v28, v25, v13
	v_mul_f32_e32 v5, v25, v12
	v_fma_f32 v25, v30, v9, -v4
	v_mul_f32_e32 v4, v27, v16
	v_fmac_f32_e32 v29, v26, v16
	v_mul_f32_e32 v19, v31, v9
	v_fmac_f32_e32 v28, v24, v12
	v_fma_f32 v24, v24, v13, -v5
	v_fma_f32 v16, v26, v17, -v4
	v_add_f32_e32 v4, v36, v7
	v_mul_f32_e32 v5, v60, v20
	v_fmac_f32_e32 v19, v30, v8
	v_mul_f32_e32 v27, v60, v21
	v_add_f32_e32 v8, v32, v36
	v_fma_f32 v9, -0.5, v4, v32
	v_sub_f32_e32 v4, v2, v10
	v_fma_f32 v17, v59, v21, -v5
	v_add_f32_e32 v5, v2, v10
	v_add_f32_e32 v2, v33, v2
	v_fmac_f32_e32 v27, v59, v20
	v_fmamk_f32 v12, v4, 0xbf5db3d7, v9
	v_fmac_f32_e32 v9, 0x3f5db3d7, v4
	v_add_f32_e32 v4, v6, v14
	v_add_f32_e32 v8, v8, v7
	v_fma_f32 v13, -0.5, v5, v33
	v_sub_f32_e32 v5, v36, v7
	v_add_f32_e32 v20, v2, v10
	v_add_f32_e32 v2, v23, v11
	v_add_f32_e32 v7, v3, v6
	v_fmac_f32_e32 v3, -0.5, v4
	v_sub_f32_e32 v4, v23, v11
	v_fmamk_f32 v21, v5, 0x3f5db3d7, v13
	v_add_f32_e32 v10, v22, v23
	v_fmac_f32_e32 v22, -0.5, v2
	v_sub_f32_e32 v2, v6, v14
	v_fmac_f32_e32 v13, 0xbf5db3d7, v5
	v_fmamk_f32 v5, v4, 0x3f5db3d7, v3
	v_fmac_f32_e32 v3, 0xbf5db3d7, v4
	v_add_f32_e32 v10, v10, v11
	v_fmamk_f32 v4, v2, 0xbf5db3d7, v22
	v_fmac_f32_e32 v22, 0x3f5db3d7, v2
	v_mul_f32_e32 v11, 0xbf5db3d7, v5
	v_mul_f32_e32 v23, 0xbf5db3d7, v3
	v_add_f32_e32 v14, v7, v14
	v_mul_f32_e32 v26, 0.5, v5
	v_mul_f32_e32 v30, -0.5, v3
	v_fmac_f32_e32 v11, 0.5, v4
	v_fmac_f32_e32 v23, -0.5, v22
	v_add_f32_e32 v2, v8, v10
	v_fmac_f32_e32 v26, 0x3f5db3d7, v4
	v_add_f32_e32 v3, v20, v14
	v_add_f32_e32 v4, v12, v11
	;; [unrolled: 1-line block ×3, first 2 shown]
	v_sub_f32_e32 v8, v8, v10
	v_sub_f32_e32 v10, v12, v11
	;; [unrolled: 1-line block ×4, first 2 shown]
	v_add_f32_e32 v14, v19, v29
	v_add_f32_e32 v5, v21, v26
	v_sub_f32_e32 v11, v21, v26
	v_add_f32_e32 v21, v25, v16
	v_fmac_f32_e32 v30, 0x3f5db3d7, v22
	v_fma_f32 v23, -0.5, v14, v34
	v_sub_f32_e32 v14, v25, v16
	v_add_f32_e32 v22, v35, v25
	v_fmac_f32_e32 v35, -0.5, v21
	v_add_f32_e32 v20, v34, v19
	v_sub_f32_e32 v19, v19, v29
	v_fmamk_f32 v21, v14, 0xbf5db3d7, v23
	v_fmac_f32_e32 v23, 0x3f5db3d7, v14
	v_add_f32_e32 v14, v24, v17
	v_add_f32_e32 v25, v22, v16
	v_add_f32_e32 v16, v28, v27
	v_add_f32_e32 v22, v18, v24
	v_fmamk_f32 v26, v19, 0x3f5db3d7, v35
	v_fmac_f32_e32 v18, -0.5, v14
	v_sub_f32_e32 v14, v28, v27
	v_add_f32_e32 v28, v15, v28
	v_fmac_f32_e32 v15, -0.5, v16
	v_sub_f32_e32 v16, v24, v17
	v_fmac_f32_e32 v35, 0xbf5db3d7, v19
	v_fmamk_f32 v19, v14, 0x3f5db3d7, v18
	v_fmac_f32_e32 v18, 0xbf5db3d7, v14
	v_add_f32_e32 v24, v28, v27
	v_fmamk_f32 v27, v16, 0xbf5db3d7, v15
	v_add_f32_e32 v20, v20, v29
	v_mul_f32_e32 v28, 0xbf5db3d7, v19
	v_mul_f32_e32 v31, 0.5, v19
	v_fmac_f32_e32 v15, 0x3f5db3d7, v16
	v_mul_f32_e32 v29, 0xbf5db3d7, v18
	v_mul_f32_e32 v32, -0.5, v18
	v_add_f32_e32 v7, v13, v30
	v_sub_f32_e32 v13, v13, v30
	v_add_f32_e32 v30, v22, v17
	v_fmac_f32_e32 v28, 0.5, v27
	v_fmac_f32_e32 v31, 0x3f5db3d7, v27
	v_fmac_f32_e32 v29, -0.5, v15
	v_fmac_f32_e32 v32, 0x3f5db3d7, v15
	v_add_f32_e32 v14, v20, v24
	v_add_f32_e32 v16, v21, v28
	;; [unrolled: 1-line block ×6, first 2 shown]
	v_sub_f32_e32 v20, v20, v24
	v_sub_f32_e32 v22, v21, v28
	;; [unrolled: 1-line block ×6, first 2 shown]
	ds_write2_b64 v92, v[2:3], v[4:5] offset1:51
	ds_write2_b64 v92, v[6:7], v[8:9] offset0:102 offset1:153
	ds_write2_b64 v92, v[10:11], v[12:13] offset0:204 offset1:255
	;; [unrolled: 1-line block ×5, first 2 shown]
	s_waitcnt lgkmcnt(0)
	s_barrier
	buffer_gl0_inv
	ds_read2_b64 v[2:5], v0 offset0:50 offset1:101
	ds_read2_b64 v[6:9], v0 offset0:152 offset1:203
	;; [unrolled: 1-line block ×3, first 2 shown]
	ds_read2_b64 v[14:17], v92 offset1:51
	ds_read2_b64 v[18:21], v92 offset0:102 offset1:153
	ds_read2_b64 v[22:25], v92 offset0:204 offset1:255
	s_waitcnt lgkmcnt(5)
	v_mul_f32_e32 v26, v64, v3
	v_mul_f32_e32 v27, v64, v2
	;; [unrolled: 1-line block ×4, first 2 shown]
	s_waitcnt lgkmcnt(4)
	v_mul_f32_e32 v30, v72, v9
	v_fmac_f32_e32 v26, v63, v2
	v_fma_f32 v3, v63, v3, -v27
	v_fmac_f32_e32 v28, v65, v4
	v_mul_f32_e32 v27, v62, v7
	v_mul_f32_e32 v2, v62, v6
	;; [unrolled: 1-line block ×3, first 2 shown]
	v_fma_f32 v29, v65, v5, -v29
	s_waitcnt lgkmcnt(3)
	v_mul_f32_e32 v31, v68, v11
	v_fmac_f32_e32 v27, v61, v6
	v_fma_f32 v32, v61, v7, -v2
	v_fma_f32 v33, v71, v9, -v4
	v_mul_f32_e32 v4, v68, v10
	v_mul_f32_e32 v34, v70, v13
	;; [unrolled: 1-line block ×3, first 2 shown]
	v_fmac_f32_e32 v30, v71, v8
	v_fmac_f32_e32 v31, v67, v10
	s_waitcnt lgkmcnt(2)
	v_sub_f32_e32 v2, v14, v26
	v_fma_f32 v26, v67, v11, -v4
	v_sub_f32_e32 v3, v15, v3
	v_fmac_f32_e32 v34, v69, v12
	v_fma_f32 v35, v69, v13, -v5
	s_waitcnt lgkmcnt(1)
	v_sub_f32_e32 v8, v18, v27
	v_sub_f32_e32 v9, v19, v32
	;; [unrolled: 1-line block ×6, first 2 shown]
	v_fma_f32 v4, v14, 2.0, -v2
	v_fma_f32 v5, v15, 2.0, -v3
	;; [unrolled: 1-line block ×4, first 2 shown]
	s_waitcnt lgkmcnt(0)
	v_sub_f32_e32 v18, v22, v31
	v_sub_f32_e32 v19, v23, v26
	;; [unrolled: 1-line block ×4, first 2 shown]
	v_fma_f32 v10, v16, 2.0, -v6
	v_fma_f32 v11, v17, 2.0, -v7
	;; [unrolled: 1-line block ×8, first 2 shown]
	ds_write2_b64 v92, v[4:5], v[10:11] offset1:51
	ds_write2_b64 v0, v[2:3], v[6:7] offset0:50 offset1:101
	ds_write2_b64 v92, v[14:15], v[16:17] offset0:102 offset1:153
	;; [unrolled: 1-line block ×5, first 2 shown]
	s_waitcnt lgkmcnt(0)
	s_barrier
	buffer_gl0_inv
	s_and_b32 exec_lo, exec_lo, vcc_lo
	s_cbranch_execz .LBB0_15
; %bb.14:
	global_load_dwordx2 v[0:1], v90, s[12:13]
	ds_read_b64 v[2:3], v92
	s_mov_b32 s0, 0x1ac5701b
	s_mov_b32 s1, 0x3f5ac570
	v_mad_u64_u32 v[6:7], null, s4, v91, 0
	s_mul_i32 s2, s5, 0x120
	s_mul_i32 s3, s4, 0x120
	v_add_nc_u32_e32 v14, 0x800, v93
	s_waitcnt vmcnt(0) lgkmcnt(0)
	v_mul_f32_e32 v4, v3, v1
	v_mul_f32_e32 v1, v2, v1
	v_fmac_f32_e32 v4, v2, v0
	v_fma_f32 v2, v0, v3, -v1
	v_cvt_f64_f32_e32 v[0:1], v4
	v_cvt_f64_f32_e32 v[2:3], v2
	v_mad_u64_u32 v[4:5], null, s6, v56, 0
	s_mul_hi_u32 s6, s4, 0x120
	s_add_i32 s2, s6, s2
	v_add_co_u32 v12, s6, s12, v90
	v_add_co_ci_u32_e64 v13, null, s13, 0, s6
	v_mad_u64_u32 v[8:9], null, s7, v56, v[5:6]
	v_mad_u64_u32 v[9:10], null, s5, v91, v[7:8]
	v_mov_b32_e32 v5, v8
	v_mul_f64 v[0:1], v[0:1], s[0:1]
	v_mul_f64 v[2:3], v[2:3], s[0:1]
	v_mov_b32_e32 v7, v9
	v_cvt_f32_f64_e32 v0, v[0:1]
	v_cvt_f32_f64_e32 v1, v[2:3]
	v_lshlrev_b64 v[2:3], 3, v[4:5]
	v_lshlrev_b64 v[4:5], 3, v[6:7]
	v_add_co_u32 v10, vcc_lo, s14, v2
	v_add_co_ci_u32_e32 v11, vcc_lo, s15, v3, vcc_lo
	v_add_co_u32 v4, vcc_lo, v10, v4
	v_add_co_ci_u32_e32 v5, vcc_lo, v11, v5, vcc_lo
	global_store_dwordx2 v[4:5], v[0:1], off
	global_load_dwordx2 v[6:7], v90, s[12:13] offset:288
	ds_read2_b64 v[0:3], v93 offset0:36 offset1:72
	v_add_co_u32 v4, vcc_lo, v4, s3
	v_add_co_ci_u32_e32 v5, vcc_lo, s2, v5, vcc_lo
	s_waitcnt vmcnt(0) lgkmcnt(0)
	v_mul_f32_e32 v8, v1, v7
	v_mul_f32_e32 v7, v0, v7
	v_fmac_f32_e32 v8, v0, v6
	v_fma_f32 v6, v6, v1, -v7
	v_cvt_f64_f32_e32 v[0:1], v8
	v_cvt_f64_f32_e32 v[6:7], v6
	v_mul_f64 v[0:1], v[0:1], s[0:1]
	v_mul_f64 v[6:7], v[6:7], s[0:1]
	v_cvt_f32_f64_e32 v0, v[0:1]
	v_cvt_f32_f64_e32 v1, v[6:7]
	global_store_dwordx2 v[4:5], v[0:1], off
	global_load_dwordx2 v[0:1], v90, s[12:13] offset:576
	v_add_co_u32 v4, vcc_lo, v4, s3
	v_add_co_ci_u32_e32 v5, vcc_lo, s2, v5, vcc_lo
	s_waitcnt vmcnt(0)
	v_mul_f32_e32 v6, v3, v1
	v_mul_f32_e32 v1, v2, v1
	v_fmac_f32_e32 v6, v2, v0
	v_fma_f32 v2, v0, v3, -v1
	v_cvt_f64_f32_e32 v[0:1], v6
	v_cvt_f64_f32_e32 v[2:3], v2
	v_mul_f64 v[0:1], v[0:1], s[0:1]
	v_mul_f64 v[2:3], v[2:3], s[0:1]
	v_cvt_f32_f64_e32 v0, v[0:1]
	v_cvt_f32_f64_e32 v1, v[2:3]
	global_store_dwordx2 v[4:5], v[0:1], off
	global_load_dwordx2 v[6:7], v90, s[12:13] offset:864
	ds_read2_b64 v[0:3], v93 offset0:108 offset1:144
	v_add_co_u32 v4, vcc_lo, v4, s3
	v_add_co_ci_u32_e32 v5, vcc_lo, s2, v5, vcc_lo
	s_waitcnt vmcnt(0) lgkmcnt(0)
	v_mul_f32_e32 v8, v1, v7
	v_mul_f32_e32 v7, v0, v7
	v_fmac_f32_e32 v8, v0, v6
	v_fma_f32 v6, v6, v1, -v7
	v_cvt_f64_f32_e32 v[0:1], v8
	v_cvt_f64_f32_e32 v[6:7], v6
	v_mul_f64 v[0:1], v[0:1], s[0:1]
	v_mul_f64 v[6:7], v[6:7], s[0:1]
	v_cvt_f32_f64_e32 v0, v[0:1]
	v_cvt_f32_f64_e32 v1, v[6:7]
	global_store_dwordx2 v[4:5], v[0:1], off
	global_load_dwordx2 v[0:1], v90, s[12:13] offset:1152
	v_add_co_u32 v4, vcc_lo, v4, s3
	v_add_co_ci_u32_e32 v5, vcc_lo, s2, v5, vcc_lo
	s_waitcnt vmcnt(0)
	v_mul_f32_e32 v6, v3, v1
	v_mul_f32_e32 v1, v2, v1
	v_fmac_f32_e32 v6, v2, v0
	v_fma_f32 v2, v0, v3, -v1
	v_cvt_f64_f32_e32 v[0:1], v6
	v_cvt_f64_f32_e32 v[2:3], v2
	v_mul_f64 v[0:1], v[0:1], s[0:1]
	v_mul_f64 v[2:3], v[2:3], s[0:1]
	v_cvt_f32_f64_e32 v0, v[0:1]
	v_cvt_f32_f64_e32 v1, v[2:3]
	;; [unrolled: 31-line block ×3, first 2 shown]
	global_store_dwordx2 v[4:5], v[0:1], off
	global_load_dwordx2 v[6:7], v90, s[12:13] offset:2016
	v_add_nc_u32_e32 v0, 0x400, v93
	v_add_co_u32 v4, vcc_lo, v4, s3
	v_add_co_ci_u32_e32 v5, vcc_lo, s2, v5, vcc_lo
	ds_read2_b64 v[0:3], v0 offset0:124 offset1:160
	s_waitcnt vmcnt(0) lgkmcnt(0)
	v_mul_f32_e32 v8, v1, v7
	v_mul_f32_e32 v7, v0, v7
	v_fmac_f32_e32 v8, v0, v6
	v_fma_f32 v6, v6, v1, -v7
	v_cvt_f64_f32_e32 v[0:1], v8
	v_cvt_f64_f32_e32 v[6:7], v6
	v_mul_f64 v[0:1], v[0:1], s[0:1]
	v_mul_f64 v[6:7], v[6:7], s[0:1]
	v_cvt_f32_f64_e32 v0, v[0:1]
	v_cvt_f32_f64_e32 v1, v[6:7]
	v_add_co_u32 v6, vcc_lo, 0x800, v12
	v_add_co_ci_u32_e32 v7, vcc_lo, 0, v13, vcc_lo
	global_store_dwordx2 v[4:5], v[0:1], off
	global_load_dwordx2 v[0:1], v[6:7], off offset:256
	v_add_co_u32 v4, vcc_lo, v4, s3
	v_add_co_ci_u32_e32 v5, vcc_lo, s2, v5, vcc_lo
	s_waitcnt vmcnt(0)
	v_mul_f32_e32 v8, v3, v1
	v_mul_f32_e32 v1, v2, v1
	v_fmac_f32_e32 v8, v2, v0
	v_fma_f32 v2, v0, v3, -v1
	v_cvt_f64_f32_e32 v[0:1], v8
	v_cvt_f64_f32_e32 v[2:3], v2
	v_mul_f64 v[0:1], v[0:1], s[0:1]
	v_mul_f64 v[2:3], v[2:3], s[0:1]
	v_cvt_f32_f64_e32 v0, v[0:1]
	v_cvt_f32_f64_e32 v1, v[2:3]
	global_store_dwordx2 v[4:5], v[0:1], off
	global_load_dwordx2 v[8:9], v[6:7], off offset:544
	ds_read2_b64 v[0:3], v14 offset0:68 offset1:104
	v_add_co_u32 v4, vcc_lo, v4, s3
	v_add_co_ci_u32_e32 v5, vcc_lo, s2, v5, vcc_lo
	s_waitcnt vmcnt(0) lgkmcnt(0)
	v_mul_f32_e32 v15, v1, v9
	v_mul_f32_e32 v9, v0, v9
	v_fmac_f32_e32 v15, v0, v8
	v_fma_f32 v8, v8, v1, -v9
	v_cvt_f64_f32_e32 v[0:1], v15
	v_cvt_f64_f32_e32 v[8:9], v8
	v_mul_f64 v[0:1], v[0:1], s[0:1]
	v_mul_f64 v[8:9], v[8:9], s[0:1]
	v_cvt_f32_f64_e32 v0, v[0:1]
	v_cvt_f32_f64_e32 v1, v[8:9]
	global_store_dwordx2 v[4:5], v[0:1], off
	global_load_dwordx2 v[0:1], v[6:7], off offset:832
	v_add_co_u32 v4, vcc_lo, v4, s3
	v_add_co_ci_u32_e32 v5, vcc_lo, s2, v5, vcc_lo
	s_waitcnt vmcnt(0)
	v_mul_f32_e32 v8, v3, v1
	v_mul_f32_e32 v1, v2, v1
	v_fmac_f32_e32 v8, v2, v0
	v_fma_f32 v2, v0, v3, -v1
	v_cvt_f64_f32_e32 v[0:1], v8
	v_cvt_f64_f32_e32 v[2:3], v2
	v_mul_f64 v[0:1], v[0:1], s[0:1]
	v_mul_f64 v[2:3], v[2:3], s[0:1]
	v_cvt_f32_f64_e32 v0, v[0:1]
	v_cvt_f32_f64_e32 v1, v[2:3]
	global_store_dwordx2 v[4:5], v[0:1], off
	global_load_dwordx2 v[8:9], v[6:7], off offset:1120
	ds_read2_b64 v[0:3], v14 offset0:140 offset1:176
	v_add_co_u32 v4, vcc_lo, v4, s3
	v_add_co_ci_u32_e32 v5, vcc_lo, s2, v5, vcc_lo
	s_waitcnt vmcnt(0) lgkmcnt(0)
	v_mul_f32_e32 v15, v1, v9
	v_mul_f32_e32 v9, v0, v9
	v_fmac_f32_e32 v15, v0, v8
	v_fma_f32 v8, v8, v1, -v9
	v_cvt_f64_f32_e32 v[0:1], v15
	v_cvt_f64_f32_e32 v[8:9], v8
	v_mul_f64 v[0:1], v[0:1], s[0:1]
	v_mul_f64 v[8:9], v[8:9], s[0:1]
	v_cvt_f32_f64_e32 v0, v[0:1]
	v_cvt_f32_f64_e32 v1, v[8:9]
	;; [unrolled: 31-line block ×3, first 2 shown]
	global_store_dwordx2 v[4:5], v[0:1], off
	global_load_dwordx2 v[0:1], v[6:7], off offset:1984
	v_add_co_u32 v4, vcc_lo, v4, s3
	v_add_co_ci_u32_e32 v5, vcc_lo, s2, v5, vcc_lo
	s_waitcnt vmcnt(0)
	v_mul_f32_e32 v6, v3, v1
	v_mul_f32_e32 v1, v2, v1
	v_fmac_f32_e32 v6, v2, v0
	v_fma_f32 v2, v0, v3, -v1
	v_cvt_f64_f32_e32 v[0:1], v6
	v_cvt_f64_f32_e32 v[2:3], v2
	v_mul_f64 v[0:1], v[0:1], s[0:1]
	v_mul_f64 v[2:3], v[2:3], s[0:1]
	v_cvt_f32_f64_e32 v0, v[0:1]
	v_cvt_f32_f64_e32 v1, v[2:3]
	v_add_co_u32 v2, vcc_lo, 0x1000, v12
	v_add_co_ci_u32_e32 v3, vcc_lo, 0, v13, vcc_lo
	global_store_dwordx2 v[4:5], v[0:1], off
	global_load_dwordx2 v[6:7], v[2:3], off offset:224
	v_add_nc_u32_e32 v0, 0x1000, v93
	v_add_co_u32 v4, vcc_lo, v4, s3
	v_add_co_ci_u32_e32 v5, vcc_lo, s2, v5, vcc_lo
	ds_read2_b64 v[0:3], v0 offset0:28 offset1:64
	s_waitcnt vmcnt(0) lgkmcnt(0)
	v_mul_f32_e32 v8, v1, v7
	v_mul_f32_e32 v7, v0, v7
	v_fmac_f32_e32 v8, v0, v6
	v_fma_f32 v6, v6, v1, -v7
	v_cvt_f64_f32_e32 v[0:1], v8
	v_cvt_f64_f32_e32 v[6:7], v6
	v_mul_f64 v[0:1], v[0:1], s[0:1]
	v_mul_f64 v[6:7], v[6:7], s[0:1]
	v_cvt_f32_f64_e32 v0, v[0:1]
	v_cvt_f32_f64_e32 v1, v[6:7]
	v_lshlrev_b32_e32 v6, 3, v89
	global_store_dwordx2 v[4:5], v[0:1], off
	global_load_dwordx2 v[0:1], v6, s[12:13]
	s_waitcnt vmcnt(0)
	v_mul_f32_e32 v4, v3, v1
	v_mul_f32_e32 v1, v2, v1
	v_fmac_f32_e32 v4, v2, v0
	v_fma_f32 v2, v0, v3, -v1
	v_cvt_f64_f32_e32 v[0:1], v4
	v_cvt_f64_f32_e32 v[2:3], v2
	v_mad_u64_u32 v[4:5], null, s4, v89, 0
	v_mad_u64_u32 v[5:6], null, s5, v89, v[5:6]
	v_mul_f64 v[0:1], v[0:1], s[0:1]
	v_mul_f64 v[2:3], v[2:3], s[0:1]
	v_cvt_f32_f64_e32 v0, v[0:1]
	v_cvt_f32_f64_e32 v1, v[2:3]
	v_lshlrev_b64 v[2:3], 3, v[4:5]
	v_add_co_u32 v2, vcc_lo, v10, v2
	v_add_co_ci_u32_e32 v3, vcc_lo, v11, v3, vcc_lo
	global_store_dwordx2 v[2:3], v[0:1], off
.LBB0_15:
	s_endpgm
	.section	.rodata,"a",@progbits
	.p2align	6, 0x0
	.amdhsa_kernel bluestein_single_back_len612_dim1_sp_op_CI_CI
		.amdhsa_group_segment_fixed_size 4896
		.amdhsa_private_segment_fixed_size 0
		.amdhsa_kernarg_size 104
		.amdhsa_user_sgpr_count 6
		.amdhsa_user_sgpr_private_segment_buffer 1
		.amdhsa_user_sgpr_dispatch_ptr 0
		.amdhsa_user_sgpr_queue_ptr 0
		.amdhsa_user_sgpr_kernarg_segment_ptr 1
		.amdhsa_user_sgpr_dispatch_id 0
		.amdhsa_user_sgpr_flat_scratch_init 0
		.amdhsa_user_sgpr_private_segment_size 0
		.amdhsa_wavefront_size32 1
		.amdhsa_uses_dynamic_stack 0
		.amdhsa_system_sgpr_private_segment_wavefront_offset 0
		.amdhsa_system_sgpr_workgroup_id_x 1
		.amdhsa_system_sgpr_workgroup_id_y 0
		.amdhsa_system_sgpr_workgroup_id_z 0
		.amdhsa_system_sgpr_workgroup_info 0
		.amdhsa_system_vgpr_workitem_id 0
		.amdhsa_next_free_vgpr 230
		.amdhsa_next_free_sgpr 16
		.amdhsa_reserve_vcc 1
		.amdhsa_reserve_flat_scratch 0
		.amdhsa_float_round_mode_32 0
		.amdhsa_float_round_mode_16_64 0
		.amdhsa_float_denorm_mode_32 3
		.amdhsa_float_denorm_mode_16_64 3
		.amdhsa_dx10_clamp 1
		.amdhsa_ieee_mode 1
		.amdhsa_fp16_overflow 0
		.amdhsa_workgroup_processor_mode 1
		.amdhsa_memory_ordered 1
		.amdhsa_forward_progress 0
		.amdhsa_shared_vgpr_count 0
		.amdhsa_exception_fp_ieee_invalid_op 0
		.amdhsa_exception_fp_denorm_src 0
		.amdhsa_exception_fp_ieee_div_zero 0
		.amdhsa_exception_fp_ieee_overflow 0
		.amdhsa_exception_fp_ieee_underflow 0
		.amdhsa_exception_fp_ieee_inexact 0
		.amdhsa_exception_int_div_zero 0
	.end_amdhsa_kernel
	.text
.Lfunc_end0:
	.size	bluestein_single_back_len612_dim1_sp_op_CI_CI, .Lfunc_end0-bluestein_single_back_len612_dim1_sp_op_CI_CI
                                        ; -- End function
	.section	.AMDGPU.csdata,"",@progbits
; Kernel info:
; codeLenInByte = 18332
; NumSgprs: 18
; NumVgprs: 230
; ScratchSize: 0
; MemoryBound: 0
; FloatMode: 240
; IeeeMode: 1
; LDSByteSize: 4896 bytes/workgroup (compile time only)
; SGPRBlocks: 2
; VGPRBlocks: 28
; NumSGPRsForWavesPerEU: 18
; NumVGPRsForWavesPerEU: 230
; Occupancy: 4
; WaveLimiterHint : 1
; COMPUTE_PGM_RSRC2:SCRATCH_EN: 0
; COMPUTE_PGM_RSRC2:USER_SGPR: 6
; COMPUTE_PGM_RSRC2:TRAP_HANDLER: 0
; COMPUTE_PGM_RSRC2:TGID_X_EN: 1
; COMPUTE_PGM_RSRC2:TGID_Y_EN: 0
; COMPUTE_PGM_RSRC2:TGID_Z_EN: 0
; COMPUTE_PGM_RSRC2:TIDIG_COMP_CNT: 0
	.text
	.p2alignl 6, 3214868480
	.fill 48, 4, 3214868480
	.type	__hip_cuid_a1943a1a9ebeddc4,@object ; @__hip_cuid_a1943a1a9ebeddc4
	.section	.bss,"aw",@nobits
	.globl	__hip_cuid_a1943a1a9ebeddc4
__hip_cuid_a1943a1a9ebeddc4:
	.byte	0                               ; 0x0
	.size	__hip_cuid_a1943a1a9ebeddc4, 1

	.ident	"AMD clang version 19.0.0git (https://github.com/RadeonOpenCompute/llvm-project roc-6.4.0 25133 c7fe45cf4b819c5991fe208aaa96edf142730f1d)"
	.section	".note.GNU-stack","",@progbits
	.addrsig
	.addrsig_sym __hip_cuid_a1943a1a9ebeddc4
	.amdgpu_metadata
---
amdhsa.kernels:
  - .args:
      - .actual_access:  read_only
        .address_space:  global
        .offset:         0
        .size:           8
        .value_kind:     global_buffer
      - .actual_access:  read_only
        .address_space:  global
        .offset:         8
        .size:           8
        .value_kind:     global_buffer
      - .actual_access:  read_only
        .address_space:  global
        .offset:         16
        .size:           8
        .value_kind:     global_buffer
      - .actual_access:  read_only
        .address_space:  global
        .offset:         24
        .size:           8
        .value_kind:     global_buffer
      - .actual_access:  read_only
        .address_space:  global
        .offset:         32
        .size:           8
        .value_kind:     global_buffer
      - .offset:         40
        .size:           8
        .value_kind:     by_value
      - .address_space:  global
        .offset:         48
        .size:           8
        .value_kind:     global_buffer
      - .address_space:  global
        .offset:         56
        .size:           8
        .value_kind:     global_buffer
      - .address_space:  global
        .offset:         64
        .size:           8
        .value_kind:     global_buffer
      - .address_space:  global
        .offset:         72
        .size:           8
        .value_kind:     global_buffer
      - .offset:         80
        .size:           4
        .value_kind:     by_value
      - .address_space:  global
        .offset:         88
        .size:           8
        .value_kind:     global_buffer
      - .address_space:  global
        .offset:         96
        .size:           8
        .value_kind:     global_buffer
    .group_segment_fixed_size: 4896
    .kernarg_segment_align: 8
    .kernarg_segment_size: 104
    .language:       OpenCL C
    .language_version:
      - 2
      - 0
    .max_flat_workgroup_size: 51
    .name:           bluestein_single_back_len612_dim1_sp_op_CI_CI
    .private_segment_fixed_size: 0
    .sgpr_count:     18
    .sgpr_spill_count: 0
    .symbol:         bluestein_single_back_len612_dim1_sp_op_CI_CI.kd
    .uniform_work_group_size: 1
    .uses_dynamic_stack: false
    .vgpr_count:     230
    .vgpr_spill_count: 0
    .wavefront_size: 32
    .workgroup_processor_mode: 1
amdhsa.target:   amdgcn-amd-amdhsa--gfx1030
amdhsa.version:
  - 1
  - 2
...

	.end_amdgpu_metadata
